;; amdgpu-corpus repo=ROCm/aiter kind=harvested arch=n/a opt=n/a

/root/src/amdgpu-assembly/repos/ROCm__aiter/hsa/gfx950/fmoe_2stages/fmoe_stage1_bf16_pertokenFp8_doweight_g1u1_160x64_pf2.co:	file format elf64-amdgpu

Disassembly of section .text:

0000000000002a00 <_ZN5aiter53fmoe_stage1_bf16_pertokenFp8_doweight_g1u1_160x64_pf2E>:
	s_and_b32 s1, s1, 0xffff                                   // 000000002A00: 8601FF01 0000FFFF
	s_load_dwordx2 s[8:9], s[0:1], 0x0                         // 000000002A08: C0060200 00000000
	s_load_dwordx2 s[20:21], s[0:1], 0x10                      // 000000002A10: C0060500 00000010
	s_load_dwordx2 s[24:25], s[0:1], 0x20                      // 000000002A18: C0060600 00000020
	s_load_dwordx2 s[48:49], s[0:1], 0x30                      // 000000002A20: C0060C00 00000030
	s_load_dwordx2 s[28:29], s[0:1], 0x40                      // 000000002A28: C0060700 00000040
	s_load_dwordx2 s[32:33], s[0:1], 0x50                      // 000000002A30: C0060800 00000050
	s_load_dwordx2 s[36:37], s[0:1], 0x60                      // 000000002A38: C0060900 00000060
	s_load_dwordx2 s[12:13], s[0:1], 0x70                      // 000000002A40: C0060300 00000070
	s_load_dwordx2 s[44:45], s[0:1], 0x80                      // 000000002A48: C0060B00 00000080
	s_mov_b32 s89, 0                                           // 000000002A50: BED90080
	s_load_dword s64, s[0:1], 0x90                             // 000000002A54: C0021000 00000090
	s_load_dword s65, s[0:1], 0xa0                             // 000000002A5C: C0021040 000000A0
	s_load_dword s66, s[0:1], 0xb0                             // 000000002A64: C0021080 000000B0
	s_load_dword s67, s[0:1], 0xc0                             // 000000002A6C: C00210C0 000000C0
	s_load_dword s68, s[0:1], 0xd0                             // 000000002A74: C0021100 000000D0
	s_load_dword s69, s[0:1], 0xe0                             // 000000002A7C: C0021140 000000E0
	s_load_dword s71, s[0:1], 0xf0                             // 000000002A84: C00211C0 000000F0
	s_load_dword s72, s[0:1], 0x100                            // 000000002A8C: C0021200 00000100
	s_load_dword s74, s[0:1], 0x110                            // 000000002A94: C0021280 00000110
	s_load_dword s76, s[0:1], 0x120                            // 000000002A9C: C0021300 00000120
	s_load_dword s56, s[0:1], 0x130                            // 000000002AA4: C0020E00 00000130
	s_load_dword s88, s[0:1], 0x140                            // 000000002AAC: C0021600 00000140
	s_load_dword s89, s[0:1], 0x150                            // 000000002AB4: C0021640 00000150
	s_load_dwordx2 s[40:41], s[0:1], 0x160                     // 000000002ABC: C0060A00 00000160
	v_lshrrev_b32_e32 v1, 10, v0                               // 000000002AC4: 2002008A
	v_lshrrev_b32_e32 v2, 10, v1                               // 000000002AC8: 2004028A
	v_and_b32_e32 v2, 0x3ff, v2                                // 000000002ACC: 260404FF 000003FF
	v_and_b32_e32 v1, 0x3ff, v1                                // 000000002AD4: 260202FF 000003FF
	v_and_b32_e32 v0, 0x3ff, v0                                // 000000002ADC: 260000FF 000003FF
	v_lshrrev_b32_e32 v3, 6, v0                                // 000000002AE4: 20060086
	v_and_b32_e32 v0, 63, v0                                   // 000000002AE8: 260000BF
	s_mov_b32 s2, s2                                           // 000000002AEC: BE820002
	s_mov_b32 s3, s3                                           // 000000002AF0: BE830003
	s_mov_b32 s4, s4                                           // 000000002AF4: BE840004
	v_readfirstlane_b32 s7, v3                                 // 000000002AF8: 7E0E0503
	s_waitcnt lgkmcnt(0)                                       // 000000002AFC: BF8CC07F
	s_and_b32 s49, s49, 0xffff                                 // 000000002B00: 8631FF31 0000FFFF
	s_load_dword s48, s[48:49], 0x0                            // 000000002B08: C0020C18 00000000
	s_and_b32 s45, s45, 0xffff                                 // 000000002B10: 862DFF2D 0000FFFF
	s_and_b32 s9, s9, 0xffff                                   // 000000002B18: 8609FF09 0000FFFF
	s_mul_i32 s60, s66, s68                                    // 000000002B20: 923C4442
	s_mul_i32 s61, s66, 4                                      // 000000002B24: 923D8442
	s_mov_b32 s22, s60                                         // 000000002B28: BE96003C
	s_mov_b32 s26, -16                                         // 000000002B2C: BE9A00D0
	s_mov_b32 s30, s61                                         // 000000002B30: BE9E003D
	s_mov_b32 s14, 0x280                                       // 000000002B34: BE8E00FF 00000280
	s_mov_b32 s38, -16                                         // 000000002B3C: BEA600D0
	s_mov_b32 s10, -16                                         // 000000002B40: BE8A00D0
	s_mov_b32 s34, 0x100                                       // 000000002B44: BEA200FF 00000100
	s_mov_b32 s23, 0x20000                                     // 000000002B4C: BE9700FF 00020000
	s_mov_b32 s27, 0x20000                                     // 000000002B54: BE9B00FF 00020000
	s_mov_b32 s31, 0x20000                                     // 000000002B5C: BE9F00FF 00020000
	s_mov_b32 s35, 0x20000                                     // 000000002B64: BEA300FF 00020000
	s_mov_b32 s15, 0x20000                                     // 000000002B6C: BE8F00FF 00020000
	s_mov_b32 s39, 0x20000                                     // 000000002B74: BEA700FF 00020000
	s_mov_b32 s11, 0x20000                                     // 000000002B7C: BE8B00FF 00020000
	s_and_b32 s21, s21, 0xffff                                 // 000000002B84: 8615FF15 0000FFFF
	s_and_b32 s25, s25, 0xffff                                 // 000000002B8C: 8619FF19 0000FFFF
	s_and_b32 s29, s29, 0xffff                                 // 000000002B94: 861DFF1D 0000FFFF
	s_and_b32 s33, s33, 0xffff                                 // 000000002B9C: 8621FF21 0000FFFF
	s_and_b32 s13, s13, 0xffff                                 // 000000002BA4: 860DFF0D 0000FFFF
	s_and_b32 s37, s37, 0xffff                                 // 000000002BAC: 8625FF25 0000FFFF
	s_or_b32 s21, s21, 0x40000                                 // 000000002BB4: 8715FF15 00040000
	s_or_b32 s25, s25, 0x40000                                 // 000000002BBC: 8719FF19 00040000
	s_or_b32 s29, s29, 0x40000                                 // 000000002BC4: 871DFF1D 00040000
	s_or_b32 s33, s33, 0x40000                                 // 000000002BCC: 8721FF21 00040000
	s_or_b32 s13, s13, 0x40000                                 // 000000002BD4: 870DFF0D 00040000
	s_or_b32 s37, s37, 0x40000                                 // 000000002BDC: 8725FF25 00040000
	s_mov_b32 s42, -16                                         // 000000002BE4: BEAA00D0
	s_mov_b32 s43, 0x20000                                     // 000000002BE8: BEAB00FF 00020000
	s_and_b32 s41, s41, 0xffff                                 // 000000002BF0: 8629FF29 0000FFFF
	s_or_b32 s41, s41, 0x40000                                 // 000000002BF8: 8729FF29 00040000
	v_accvgpr_write_b32 a175, 0                                // 000000002C00: D3D940AF 18000080
	v_mov_b32_e32 v181, 0                                      // 000000002C08: 7F6A0280
	s_waitcnt lgkmcnt(0)                                       // 000000002C0C: BF8CC07F
	s_mul_i32 s60, s3, 0xa0                                    // 000000002C10: 923CFF03 000000A0
	s_cmp_lt_i32 s60, s48                                      // 000000002C18: BF04303C
	s_cbranch_scc0 label_2AA3                                  // 000000002C1C: BF842A18
	s_mov_b32 s80, 0                                           // 000000002C20: BED00080
	s_lshr_b32 s81, s64, s88                                   // 000000002C24: 8F515840
	s_mul_i32 s60, s3, 4                                       // 000000002C28: 923C8403
	s_add_u32 s44, s60, s44                                    // 000000002C2C: 802C2C3C
	s_addc_u32 s45, 0, s45                                     // 000000002C30: 822D2D80
	s_load_dword s5, s[44:45], 0x0                             // 000000002C34: C0020156 00000000
	s_mul_i32 s60, s3, 0xa0                                    // 000000002C3C: 923CFF03 000000A0
	s_mul_i32 s60, 4, s60                                      // 000000002C44: 923C3C84
	s_add_u32 s12, s60, s12                                    // 000000002C48: 800C0C3C
	s_addc_u32 s13, 0, s13                                     // 000000002C4C: 820D0D80
	v_and_b32_e32 v4, 15, v0                                   // 000000002C50: 2608008F
	v_lshlrev_b32_e32 v4, 2, v4                                // 000000002C54: 24080882
	buffer_load_dword v28, v4, s[12:15], 0 offen               // 000000002C58: E0501000 80031C04
	v_add_u32_e32 v4, 64, v4                                   // 000000002C60: 680808C0
	buffer_load_dword v29, v4, s[12:15], 0 offen               // 000000002C64: E0501000 80031D04
	v_add_u32_e32 v4, 64, v4                                   // 000000002C6C: 680808C0
	buffer_load_dword v30, v4, s[12:15], 0 offen               // 000000002C70: E0501000 80031E04
	v_add_u32_e32 v4, 64, v4                                   // 000000002C78: 680808C0
	buffer_load_dword v31, v4, s[12:15], 0 offen               // 000000002C7C: E0501000 80031F04
	v_add_u32_e32 v4, 64, v4                                   // 000000002C84: 680808C0
	buffer_load_dword v32, v4, s[12:15], 0 offen               // 000000002C88: E0501000 80032004
	v_add_u32_e32 v4, 64, v4                                   // 000000002C90: 680808C0
	buffer_load_dword v33, v4, s[12:15], 0 offen               // 000000002C94: E0501000 80032104
	v_add_u32_e32 v4, 64, v4                                   // 000000002C9C: 680808C0
	buffer_load_dword v34, v4, s[12:15], 0 offen               // 000000002CA0: E0501000 80032204
	v_add_u32_e32 v4, 64, v4                                   // 000000002CA8: 680808C0
	buffer_load_dword v35, v4, s[12:15], 0 offen               // 000000002CAC: E0501000 80032304
	v_add_u32_e32 v4, 64, v4                                   // 000000002CB4: 680808C0
	buffer_load_dword v36, v4, s[12:15], 0 offen               // 000000002CB8: E0501000 80032404
	v_add_u32_e32 v4, 64, v4                                   // 000000002CC0: 680808C0
	buffer_load_dword v37, v4, s[12:15], 0 offen               // 000000002CC4: E0501000 80032504
	v_add_u32_e32 v4, 64, v4                                   // 000000002CCC: 680808C0
	s_mul_i32 s60, 4, s7                                       // 000000002CD0: 923C0784
	v_lshlrev_b32_e32 v4, 4, v0                                // 000000002CD4: 24080084
	v_add_u32_e32 v4, s60, v4                                  // 000000002CD8: 6808083C
	buffer_load_dword v3, v4, s[12:15], 0 offen                // 000000002CDC: E0501000 80030304
	v_mov_b32_e32 v92, 0                                       // 000000002CE4: 7EB80280
	v_mov_b32_e32 v132, 0                                      // 000000002CE8: 7F080280
	v_mov_b32_e32 v93, 0                                       // 000000002CEC: 7EBA0280
	v_mov_b32_e32 v133, 0                                      // 000000002CF0: 7F0A0280
	v_mov_b32_e32 v94, 0                                       // 000000002CF4: 7EBC0280
	v_mov_b32_e32 v134, 0                                      // 000000002CF8: 7F0C0280
	v_mov_b32_e32 v95, 0                                       // 000000002CFC: 7EBE0280
	v_mov_b32_e32 v135, 0                                      // 000000002D00: 7F0E0280
	v_mov_b32_e32 v96, 0                                       // 000000002D04: 7EC00280
	v_mov_b32_e32 v136, 0                                      // 000000002D08: 7F100280
	v_mov_b32_e32 v97, 0                                       // 000000002D0C: 7EC20280
	v_mov_b32_e32 v137, 0                                      // 000000002D10: 7F120280
	v_mov_b32_e32 v98, 0                                       // 000000002D14: 7EC40280
	v_mov_b32_e32 v138, 0                                      // 000000002D18: 7F140280
	v_mov_b32_e32 v99, 0                                       // 000000002D1C: 7EC60280
	v_mov_b32_e32 v139, 0                                      // 000000002D20: 7F160280
	v_mov_b32_e32 v100, 0                                      // 000000002D24: 7EC80280
	v_mov_b32_e32 v140, 0                                      // 000000002D28: 7F180280
	v_mov_b32_e32 v101, 0                                      // 000000002D2C: 7ECA0280
	v_mov_b32_e32 v141, 0                                      // 000000002D30: 7F1A0280
	v_mov_b32_e32 v102, 0                                      // 000000002D34: 7ECC0280
	v_mov_b32_e32 v142, 0                                      // 000000002D38: 7F1C0280
	v_mov_b32_e32 v103, 0                                      // 000000002D3C: 7ECE0280
	v_mov_b32_e32 v143, 0                                      // 000000002D40: 7F1E0280
	v_mov_b32_e32 v104, 0                                      // 000000002D44: 7ED00280
	v_mov_b32_e32 v144, 0                                      // 000000002D48: 7F200280
	v_mov_b32_e32 v105, 0                                      // 000000002D4C: 7ED20280
	v_mov_b32_e32 v145, 0                                      // 000000002D50: 7F220280
	v_mov_b32_e32 v106, 0                                      // 000000002D54: 7ED40280
	v_mov_b32_e32 v146, 0                                      // 000000002D58: 7F240280
	v_mov_b32_e32 v107, 0                                      // 000000002D5C: 7ED60280
	v_mov_b32_e32 v147, 0                                      // 000000002D60: 7F260280
	v_mov_b32_e32 v108, 0                                      // 000000002D64: 7ED80280
	v_mov_b32_e32 v148, 0                                      // 000000002D68: 7F280280
	v_mov_b32_e32 v109, 0                                      // 000000002D6C: 7EDA0280
	v_mov_b32_e32 v149, 0                                      // 000000002D70: 7F2A0280
	v_mov_b32_e32 v110, 0                                      // 000000002D74: 7EDC0280
	v_mov_b32_e32 v150, 0                                      // 000000002D78: 7F2C0280
	v_mov_b32_e32 v111, 0                                      // 000000002D7C: 7EDE0280
	v_mov_b32_e32 v151, 0                                      // 000000002D80: 7F2E0280
	v_mov_b32_e32 v112, 0                                      // 000000002D84: 7EE00280
	v_mov_b32_e32 v152, 0                                      // 000000002D88: 7F300280
	v_mov_b32_e32 v113, 0                                      // 000000002D8C: 7EE20280
	v_mov_b32_e32 v153, 0                                      // 000000002D90: 7F320280
	v_mov_b32_e32 v114, 0                                      // 000000002D94: 7EE40280
	v_mov_b32_e32 v154, 0                                      // 000000002D98: 7F340280
	v_mov_b32_e32 v115, 0                                      // 000000002D9C: 7EE60280
	v_mov_b32_e32 v155, 0                                      // 000000002DA0: 7F360280
	v_mov_b32_e32 v116, 0                                      // 000000002DA4: 7EE80280
	v_mov_b32_e32 v156, 0                                      // 000000002DA8: 7F380280
	v_mov_b32_e32 v117, 0                                      // 000000002DAC: 7EEA0280
	v_mov_b32_e32 v157, 0                                      // 000000002DB0: 7F3A0280
	v_mov_b32_e32 v118, 0                                      // 000000002DB4: 7EEC0280
	v_mov_b32_e32 v158, 0                                      // 000000002DB8: 7F3C0280
	v_mov_b32_e32 v119, 0                                      // 000000002DBC: 7EEE0280
	v_mov_b32_e32 v159, 0                                      // 000000002DC0: 7F3E0280
	v_mov_b32_e32 v120, 0                                      // 000000002DC4: 7EF00280
	v_mov_b32_e32 v160, 0                                      // 000000002DC8: 7F400280
	v_mov_b32_e32 v121, 0                                      // 000000002DCC: 7EF20280
	v_mov_b32_e32 v161, 0                                      // 000000002DD0: 7F420280
	v_mov_b32_e32 v122, 0                                      // 000000002DD4: 7EF40280
	v_mov_b32_e32 v162, 0                                      // 000000002DD8: 7F440280
	v_mov_b32_e32 v123, 0                                      // 000000002DDC: 7EF60280
	v_mov_b32_e32 v163, 0                                      // 000000002DE0: 7F460280
	v_mov_b32_e32 v124, 0                                      // 000000002DE4: 7EF80280
	v_mov_b32_e32 v164, 0                                      // 000000002DE8: 7F480280
	v_mov_b32_e32 v125, 0                                      // 000000002DEC: 7EFA0280
	v_mov_b32_e32 v165, 0                                      // 000000002DF0: 7F4A0280
	v_mov_b32_e32 v126, 0                                      // 000000002DF4: 7EFC0280
	v_mov_b32_e32 v166, 0                                      // 000000002DF8: 7F4C0280
	v_mov_b32_e32 v127, 0                                      // 000000002DFC: 7EFE0280
	v_mov_b32_e32 v167, 0                                      // 000000002E00: 7F4E0280
	v_mov_b32_e32 v128, 0                                      // 000000002E04: 7F000280
	v_mov_b32_e32 v168, 0                                      // 000000002E08: 7F500280
	v_mov_b32_e32 v129, 0                                      // 000000002E0C: 7F020280
	v_mov_b32_e32 v169, 0                                      // 000000002E10: 7F520280
	v_mov_b32_e32 v130, 0                                      // 000000002E14: 7F040280
	v_mov_b32_e32 v170, 0                                      // 000000002E18: 7F540280
	v_mov_b32_e32 v131, 0                                      // 000000002E1C: 7F060280
	v_mov_b32_e32 v171, 0                                      // 000000002E20: 7F560280
	s_mul_i32 s60, s2, 0x80                                    // 000000002E24: 923CFF02 00000080
	s_cmp_eq_u32 s88, 0                                        // 000000002E2C: BF068058
	s_cselect_b32 s61, 1, 2                                    // 000000002E30: 853D8281
	s_mul_i32 s60, s60, s61                                    // 000000002E34: 923C3D3C
	s_mov_b32 s90, s8                                          // 000000002E38: BEDA0008
	s_mov_b32 s91, s9                                          // 000000002E3C: BEDB0009
	s_add_u32 s8, s60, s8                                      // 000000002E40: 8008083C
	s_addc_u32 s9, 0, s9                                       // 000000002E44: 82090980
	v_lshrrev_b32_e32 v4, 4, v0                                // 000000002E48: 20080084
	v_mul_lo_u32 v20, 34, v4                                   // 000000002E4C: D2850014 000208A2
	v_and_b32_e32 v4, 15, v0                                   // 000000002E54: 2608008F
	v_mul_lo_u32 v5, 2, v4                                     // 000000002E58: D2850005 00020882
	v_add_u32_e32 v20, v5, v20                                 // 000000002E60: 68282905
	s_mul_i32 s60, s7, 0x88                                    // 000000002E64: 923CFF07 00000088
	v_add_u32_e32 v20, s60, v20                                // 000000002E6C: 6828283C
	v_lshlrev_b32_e32 v20, 2, v20                              // 000000002E70: 24282882
	v_and_b32_e32 v4, 31, v0                                   // 000000002E74: 2608009F
	v_lshrrev_b32_e32 v4, 1, v4                                // 000000002E78: 20080881
	v_mul_lo_u32 v21, 34, v4                                   // 000000002E7C: D2850015 000208A2
	v_lshrrev_b32_e32 v4, 5, v0                                // 000000002E84: 20080085
	v_mul_lo_u32 v4, 8, v4                                     // 000000002E88: D2850004 00020888
	v_add_u32_e32 v21, v21, v4                                 // 000000002E90: 682A0915
	v_and_b32_e32 v5, 1, v0                                    // 000000002E94: 260A0081
	v_add_u32_e32 v21, v5, v21                                 // 000000002E98: 682A2B05
	s_mul_i32 s60, s7, 2                                       // 000000002E9C: 923C8207
	v_add_u32_e32 v21, s60, v21                                // 000000002EA0: 682A2A3C
	v_lshlrev_b32_e32 v21, 2, v21                              // 000000002EA4: 242A2A82
	s_mul_i32 s60, s7, 0x1420                                  // 000000002EA8: 923CFF07 00001420
	s_add_u32 s48, 0, s60                                      // 000000002EB0: 80303C80
	s_add_u32 s49, 0x5080, s48                                 // 000000002EB4: 803130FF 00005080
	v_lshrrev_b32_e32 v4, 4, v0                                // 000000002EBC: 20080084
	v_lshlrev_b32_e32 v5, 2, v4                                // 000000002EC0: 240A0882
	v_and_b32_e32 v4, 15, v0                                   // 000000002EC4: 2608008F
	v_lshrrev_b32_e32 v6, 2, v4                                // 000000002EC8: 200C0882
	v_lshlrev_b32_e32 v6, 5, v6                                // 000000002ECC: 240C0C85
	v_add_u32_e32 v5, v6, v5                                   // 000000002ED0: 680A0B06
	v_and_b32_e32 v4, 3, v0                                    // 000000002ED4: 26080083
	v_mul_u32_u24_e32 v6, 0x508, v4                            // 000000002ED8: 100C08FF 00000508
	v_add_u32_e32 v5, v6, v5                                   // 000000002EE0: 680A0B06
	v_lshlrev_b32_e32 v2, 2, v5                                // 000000002EE4: 24040A82
	s_waitcnt lgkmcnt(0)                                       // 000000002EE8: BF8CC07F
	s_mul_i32 s60, s2, 64                                      // 000000002EEC: 923CC002
	s_mul_i32 s60, s60, s69                                    // 000000002EF0: 923C453C
	s_mul_i32 s61, s5, s72                                     // 000000002EF4: 923D4805
	s_add_u32 s60, s61, s60                                    // 000000002EF8: 803C3C3D
	s_add_u32 s24, s60, s24                                    // 000000002EFC: 8018183C
	s_addc_u32 s25, 0, s25                                     // 000000002F00: 82191980
	s_lshr_b32 s60, s64, s88                                   // 000000002F04: 8F3C5840
	s_mul_i32 s60, s4, s60                                     // 000000002F08: 923C3C04
	s_lshr_b32 s60, s60, 7                                     // 000000002F0C: 8F3C873C
	s_mul_i32 s60, s60, 0x800                                  // 000000002F10: 923CFF3C 00000800
	s_add_u32 s24, s60, s24                                    // 000000002F18: 8018183C
	s_addc_u32 s25, 0, s25                                     // 000000002F1C: 82191980
	s_lshr_b32 s60, s69, s88                                   // 000000002F20: 8F3C5845
	s_mul_i32 s60, s4, s60                                     // 000000002F24: 923C3C04
	s_add_u32 s20, s60, s20                                    // 000000002F28: 8014143C
	s_addc_u32 s21, 0, s21                                     // 000000002F2C: 82151580
	s_mul_i32 s60, s7, 16                                      // 000000002F30: 923C9007
	s_mul_i32 s60, s60, s69                                    // 000000002F34: 923C453C
	v_lshlrev_b32_e32 v88, 4, v0                               // 000000002F38: 24B00084
	v_add_u32_e32 v88, s60, v88                                // 000000002F3C: 68B0B03C
	s_mul_i32 s60, 64, s69                                     // 000000002F40: 923C45C0
	s_mov_b32 s84, s24                                         // 000000002F44: BED40018
	s_mov_b32 s85, s25                                         // 000000002F48: BED50019
	s_mov_b32 s86, s26                                         // 000000002F4C: BED6001A
	s_mov_b32 s87, s27                                         // 000000002F50: BED7001B
	s_mul_i32 s60, s69, s65                                    // 000000002F54: 923C4145
	s_add_u32 s84, s60, s84                                    // 000000002F58: 8054543C
	s_addc_u32 s85, 0, s85                                     // 000000002F5C: 82555580
	v_lshrrev_b32_e32 v4, 4, v0                                // 000000002F60: 20080084
	v_lshlrev_b32_e32 v5, 2, v4                                // 000000002F64: 240A0882
	v_and_b32_e32 v4, 15, v0                                   // 000000002F68: 2608008F
	v_lshrrev_b32_e32 v6, 2, v4                                // 000000002F6C: 200C0882
	v_lshlrev_b32_e32 v6, 6, v6                                // 000000002F70: 240C0C86
	v_add_u32_e32 v5, v6, v5                                   // 000000002F74: 680A0B06
	v_and_b32_e32 v4, 3, v0                                    // 000000002F78: 26080083
	v_add_u32_e32 v5, v4, v5                                   // 000000002F7C: 680A0B04
	v_lshlrev_b32_e32 v22, 2, v5                               // 000000002F80: 242C0A82
	s_mul_i32 s60, s7, 16                                      // 000000002F84: 923C9007
	s_mul_i32 s60, s60, 4                                      // 000000002F88: 923C843C
	v_add_u32_e32 v22, s60, v22                                // 000000002F8C: 682C2C3C
	s_mul_i32 s60, s2, 64                                      // 000000002F90: 923CC002
	s_mul_i32 s60, s60, 4                                      // 000000002F94: 923C843C
	s_mul_i32 s61, s5, s74                                     // 000000002F98: 923D4A05
	s_add_u32 s61, s61, s60                                    // 000000002F9C: 803D3C3D
	s_add_u32 s32, s61, s32                                    // 000000002FA0: 8020203D
	s_addc_u32 s33, 0, s33                                     // 000000002FA4: 82212180
	s_mov_b32 s57, 0x80                                        // 000000002FA8: BEB900FF 00000080
	s_mov_b32 s58, 0x800                                       // 000000002FB0: BEBA00FF 00000800
	s_mov_b32 s83, s58                                         // 000000002FB8: BED3003A
	s_mov_b32 s52, 0x7060302                                   // 000000002FBC: BEB400FF 07060302
	s_mov_b32 s53, 0x400                                       // 000000002FC4: BEB500FF 00000400
	s_mov_b32 s54, 0x40100                                     // 000000002FCC: BEB600FF 00040100
	s_mov_b32 s55, 0x4020100                                   // 000000002FD4: BEB700FF 04020100
	s_mov_b32 s6, 0x3fb8aa3b                                   // 000000002FDC: BE8600FF 3FB8AA3B
	s_mov_b32 s78, 0xbd92220c                                  // 000000002FE4: BECE00FF BD92220C
	s_mov_b32 s79, 0xbd92220c                                  // 000000002FEC: BECF00FF BD92220C
	s_mov_b32 m0, s48                                          // 000000002FF4: BEFC0030
	v_mov_b32_e32 v1, 0xbfcc4231                               // 000000002FF8: 7E0202FF BFCC4231
	v_mov_b32_e32 v17, 0xffff0000                              // 000000003000: 7E2202FF FFFF0000
	v_mov_b32_e32 v18, 0x7fff0000                              // 000000003008: 7E2402FF 7FFF0000
	v_mov_b32_e32 v19, 0x7fff                                  // 000000003010: 7E2602FF 00007FFF
	s_waitcnt vmcnt(0) expcnt(0) lgkmcnt(0)                    // 000000003018: BF8C0000
	s_mul_i32 s60, s3, 0xa0                                    // 00000000301C: 923CFF03 000000A0
	s_mul_i32 s60, 4, s60                                      // 000000003024: 923C3C84
	s_add_u32 s40, s60, s40                                    // 000000003028: 8028283C
	s_addc_u32 s41, 0, s41                                     // 00000000302C: 82292980
	v_and_b32_e32 v4, 15, v0                                   // 000000003030: 2608008F
	v_lshlrev_b32_e32 v4, 2, v4                                // 000000003034: 24080882
	buffer_load_dword v172, v4, s[40:43], 0 offen              // 000000003038: E0501000 800AAC04
	buffer_load_dword v173, v4, s[40:43], 0 offen offset:64    // 000000003040: E0501040 800AAD04
	buffer_load_dword v174, v4, s[40:43], 0 offen offset:128   // 000000003048: E0501080 800AAE04
	buffer_load_dword v175, v4, s[40:43], 0 offen offset:192   // 000000003050: E05010C0 800AAF04
	buffer_load_dword v176, v4, s[40:43], 0 offen offset:256   // 000000003058: E0501100 800AB004
	buffer_load_dword v177, v4, s[40:43], 0 offen offset:320   // 000000003060: E0501140 800AB104
	buffer_load_dword v178, v4, s[40:43], 0 offen offset:384   // 000000003068: E0501180 800AB204
	buffer_load_dword v179, v4, s[40:43], 0 offen offset:448   // 000000003070: E05011C0 800AB304
	buffer_load_dword v180, v4, s[40:43], 0 offen offset:512   // 000000003078: E0501200 800AB404
	buffer_load_dword v181, v4, s[40:43], 0 offen offset:576   // 000000003080: E0501240 800AB504
	v_lshrrev_b32_e32 v4, 5, v0                                // 000000003088: 20080085
	v_xor_b32_e32 v5, 1, v4                                    // 00000000308C: 2A0A0881
	v_readlane_b32 s82, v3, 0                                  // 000000003090: D2890052 00010103
	s_and_b32 s82, s82, 0xffffff                               // 000000003098: 8652FF52 00FFFFFF
	v_mul_lo_u32 v6, v5, s82                                   // 0000000030A0: D2850006 0000A505
	v_readlane_b32 s82, v3, 1                                  // 0000000030A8: D2890052 00010303
	s_and_b32 s82, s82, 0xffffff                               // 0000000030B0: 8652FF52 00FFFFFF
	v_mul_lo_u32 v7, v4, s82                                   // 0000000030B8: D2850007 0000A504
	v_add_u32_e32 v68, v6, v7                                  // 0000000030C0: 68880F06
	v_mul_lo_u32 v68, v68, s68                                 // 0000000030C4: D2850044 00008944
	v_readlane_b32 s82, v3, 2                                  // 0000000030CC: D2890052 00010503
	s_and_b32 s82, s82, 0xffffff                               // 0000000030D4: 8652FF52 00FFFFFF
	v_mul_lo_u32 v6, v5, s82                                   // 0000000030DC: D2850006 0000A505
	v_readlane_b32 s82, v3, 3                                  // 0000000030E4: D2890052 00010703
	s_and_b32 s82, s82, 0xffffff                               // 0000000030EC: 8652FF52 00FFFFFF
	v_mul_lo_u32 v7, v4, s82                                   // 0000000030F4: D2850007 0000A504
	v_add_u32_e32 v69, v6, v7                                  // 0000000030FC: 688A0F06
	v_mul_lo_u32 v69, v69, s68                                 // 000000003100: D2850045 00008945
	v_readlane_b32 s82, v3, 4                                  // 000000003108: D2890052 00010903
	s_and_b32 s82, s82, 0xffffff                               // 000000003110: 8652FF52 00FFFFFF
	v_mul_lo_u32 v6, v5, s82                                   // 000000003118: D2850006 0000A505
	v_readlane_b32 s82, v3, 5                                  // 000000003120: D2890052 00010B03
	s_and_b32 s82, s82, 0xffffff                               // 000000003128: 8652FF52 00FFFFFF
	v_mul_lo_u32 v7, v4, s82                                   // 000000003130: D2850007 0000A504
	v_add_u32_e32 v70, v6, v7                                  // 000000003138: 688C0F06
	v_mul_lo_u32 v70, v70, s68                                 // 00000000313C: D2850046 00008946
	v_readlane_b32 s82, v3, 6                                  // 000000003144: D2890052 00010D03
	s_and_b32 s82, s82, 0xffffff                               // 00000000314C: 8652FF52 00FFFFFF
	v_mul_lo_u32 v6, v5, s82                                   // 000000003154: D2850006 0000A505
	v_readlane_b32 s82, v3, 7                                  // 00000000315C: D2890052 00010F03
	s_and_b32 s82, s82, 0xffffff                               // 000000003164: 8652FF52 00FFFFFF
	v_mul_lo_u32 v7, v4, s82                                   // 00000000316C: D2850007 0000A504
	v_add_u32_e32 v71, v6, v7                                  // 000000003174: 688E0F06
	v_mul_lo_u32 v71, v71, s68                                 // 000000003178: D2850047 00008947
	v_readlane_b32 s82, v3, 8                                  // 000000003180: D2890052 00011103
	s_and_b32 s82, s82, 0xffffff                               // 000000003188: 8652FF52 00FFFFFF
	v_mul_lo_u32 v6, v5, s82                                   // 000000003190: D2850006 0000A505
	v_readlane_b32 s82, v3, 9                                  // 000000003198: D2890052 00011303
	s_and_b32 s82, s82, 0xffffff                               // 0000000031A0: 8652FF52 00FFFFFF
	v_mul_lo_u32 v7, v4, s82                                   // 0000000031A8: D2850007 0000A504
	v_add_u32_e32 v72, v6, v7                                  // 0000000031B0: 68900F06
	v_mul_lo_u32 v72, v72, s68                                 // 0000000031B4: D2850048 00008948
	v_readlane_b32 s82, v3, 10                                 // 0000000031BC: D2890052 00011503
	s_and_b32 s82, s82, 0xffffff                               // 0000000031C4: 8652FF52 00FFFFFF
	v_mul_lo_u32 v6, v5, s82                                   // 0000000031CC: D2850006 0000A505
	v_readlane_b32 s82, v3, 11                                 // 0000000031D4: D2890052 00011703
	s_and_b32 s82, s82, 0xffffff                               // 0000000031DC: 8652FF52 00FFFFFF
	v_mul_lo_u32 v7, v4, s82                                   // 0000000031E4: D2850007 0000A504
	v_add_u32_e32 v73, v6, v7                                  // 0000000031EC: 68920F06
	v_mul_lo_u32 v73, v73, s68                                 // 0000000031F0: D2850049 00008949
	v_readlane_b32 s82, v3, 12                                 // 0000000031F8: D2890052 00011903
	s_and_b32 s82, s82, 0xffffff                               // 000000003200: 8652FF52 00FFFFFF
	v_mul_lo_u32 v6, v5, s82                                   // 000000003208: D2850006 0000A505
	v_readlane_b32 s82, v3, 13                                 // 000000003210: D2890052 00011B03
	s_and_b32 s82, s82, 0xffffff                               // 000000003218: 8652FF52 00FFFFFF
	v_mul_lo_u32 v7, v4, s82                                   // 000000003220: D2850007 0000A504
	v_add_u32_e32 v74, v6, v7                                  // 000000003228: 68940F06
	v_mul_lo_u32 v74, v74, s68                                 // 00000000322C: D285004A 0000894A
	v_readlane_b32 s82, v3, 14                                 // 000000003234: D2890052 00011D03
	s_and_b32 s82, s82, 0xffffff                               // 00000000323C: 8652FF52 00FFFFFF
	v_mul_lo_u32 v6, v5, s82                                   // 000000003244: D2850006 0000A505
	v_readlane_b32 s82, v3, 15                                 // 00000000324C: D2890052 00011F03
	s_and_b32 s82, s82, 0xffffff                               // 000000003254: 8652FF52 00FFFFFF
	v_mul_lo_u32 v7, v4, s82                                   // 00000000325C: D2850007 0000A504
	v_add_u32_e32 v75, v6, v7                                  // 000000003264: 68960F06
	v_mul_lo_u32 v75, v75, s68                                 // 000000003268: D285004B 0000894B
	v_readlane_b32 s82, v3, 16                                 // 000000003270: D2890052 00012103
	s_and_b32 s82, s82, 0xffffff                               // 000000003278: 8652FF52 00FFFFFF
	v_mul_lo_u32 v6, v5, s82                                   // 000000003280: D2850006 0000A505
	v_readlane_b32 s82, v3, 17                                 // 000000003288: D2890052 00012303
	s_and_b32 s82, s82, 0xffffff                               // 000000003290: 8652FF52 00FFFFFF
	v_mul_lo_u32 v7, v4, s82                                   // 000000003298: D2850007 0000A504
	v_add_u32_e32 v76, v6, v7                                  // 0000000032A0: 68980F06
	v_mul_lo_u32 v76, v76, s68                                 // 0000000032A4: D285004C 0000894C
	v_readlane_b32 s82, v3, 18                                 // 0000000032AC: D2890052 00012503
	s_and_b32 s82, s82, 0xffffff                               // 0000000032B4: 8652FF52 00FFFFFF
	v_mul_lo_u32 v6, v5, s82                                   // 0000000032BC: D2850006 0000A505
	v_readlane_b32 s82, v3, 19                                 // 0000000032C4: D2890052 00012703
	s_and_b32 s82, s82, 0xffffff                               // 0000000032CC: 8652FF52 00FFFFFF
	v_mul_lo_u32 v7, v4, s82                                   // 0000000032D4: D2850007 0000A504
	v_add_u32_e32 v77, v6, v7                                  // 0000000032DC: 689A0F06
	v_mul_lo_u32 v77, v77, s68                                 // 0000000032E0: D285004D 0000894D
	v_readlane_b32 s82, v3, 20                                 // 0000000032E8: D2890052 00012903
	s_and_b32 s82, s82, 0xffffff                               // 0000000032F0: 8652FF52 00FFFFFF
	v_mul_lo_u32 v6, v5, s82                                   // 0000000032F8: D2850006 0000A505
	v_readlane_b32 s82, v3, 21                                 // 000000003300: D2890052 00012B03
	s_and_b32 s82, s82, 0xffffff                               // 000000003308: 8652FF52 00FFFFFF
	v_mul_lo_u32 v7, v4, s82                                   // 000000003310: D2850007 0000A504
	v_add_u32_e32 v78, v6, v7                                  // 000000003318: 689C0F06
	v_mul_lo_u32 v78, v78, s68                                 // 00000000331C: D285004E 0000894E
	v_readlane_b32 s82, v3, 22                                 // 000000003324: D2890052 00012D03
	s_and_b32 s82, s82, 0xffffff                               // 00000000332C: 8652FF52 00FFFFFF
	v_mul_lo_u32 v6, v5, s82                                   // 000000003334: D2850006 0000A505
	v_readlane_b32 s82, v3, 23                                 // 00000000333C: D2890052 00012F03
	s_and_b32 s82, s82, 0xffffff                               // 000000003344: 8652FF52 00FFFFFF
	v_mul_lo_u32 v7, v4, s82                                   // 00000000334C: D2850007 0000A504
	v_add_u32_e32 v79, v6, v7                                  // 000000003354: 689E0F06
	v_mul_lo_u32 v79, v79, s68                                 // 000000003358: D285004F 0000894F
	v_readlane_b32 s82, v3, 24                                 // 000000003360: D2890052 00013103
	s_and_b32 s82, s82, 0xffffff                               // 000000003368: 8652FF52 00FFFFFF
	v_mul_lo_u32 v6, v5, s82                                   // 000000003370: D2850006 0000A505
	v_readlane_b32 s82, v3, 25                                 // 000000003378: D2890052 00013303
	s_and_b32 s82, s82, 0xffffff                               // 000000003380: 8652FF52 00FFFFFF
	v_mul_lo_u32 v7, v4, s82                                   // 000000003388: D2850007 0000A504
	v_add_u32_e32 v80, v6, v7                                  // 000000003390: 68A00F06
	v_mul_lo_u32 v80, v80, s68                                 // 000000003394: D2850050 00008950
	v_readlane_b32 s82, v3, 26                                 // 00000000339C: D2890052 00013503
	s_and_b32 s82, s82, 0xffffff                               // 0000000033A4: 8652FF52 00FFFFFF
	v_mul_lo_u32 v6, v5, s82                                   // 0000000033AC: D2850006 0000A505
	v_readlane_b32 s82, v3, 27                                 // 0000000033B4: D2890052 00013703
	s_and_b32 s82, s82, 0xffffff                               // 0000000033BC: 8652FF52 00FFFFFF
	v_mul_lo_u32 v7, v4, s82                                   // 0000000033C4: D2850007 0000A504
	v_add_u32_e32 v81, v6, v7                                  // 0000000033CC: 68A20F06
	v_mul_lo_u32 v81, v81, s68                                 // 0000000033D0: D2850051 00008951
	v_readlane_b32 s82, v3, 28                                 // 0000000033D8: D2890052 00013903
	s_and_b32 s82, s82, 0xffffff                               // 0000000033E0: 8652FF52 00FFFFFF
	v_mul_lo_u32 v6, v5, s82                                   // 0000000033E8: D2850006 0000A505
	v_readlane_b32 s82, v3, 29                                 // 0000000033F0: D2890052 00013B03
	s_and_b32 s82, s82, 0xffffff                               // 0000000033F8: 8652FF52 00FFFFFF
	v_mul_lo_u32 v7, v4, s82                                   // 000000003400: D2850007 0000A504
	v_add_u32_e32 v82, v6, v7                                  // 000000003408: 68A40F06
	v_mul_lo_u32 v82, v82, s68                                 // 00000000340C: D2850052 00008952
	v_readlane_b32 s82, v3, 30                                 // 000000003414: D2890052 00013D03
	s_and_b32 s82, s82, 0xffffff                               // 00000000341C: 8652FF52 00FFFFFF
	v_mul_lo_u32 v6, v5, s82                                   // 000000003424: D2850006 0000A505
	v_readlane_b32 s82, v3, 31                                 // 00000000342C: D2890052 00013F03
	s_and_b32 s82, s82, 0xffffff                               // 000000003434: 8652FF52 00FFFFFF
	v_mul_lo_u32 v7, v4, s82                                   // 00000000343C: D2850007 0000A504
	v_add_u32_e32 v83, v6, v7                                  // 000000003444: 68A60F06
	v_mul_lo_u32 v83, v83, s68                                 // 000000003448: D2850053 00008953
	v_readlane_b32 s82, v3, 32                                 // 000000003450: D2890052 00014103
	s_and_b32 s82, s82, 0xffffff                               // 000000003458: 8652FF52 00FFFFFF
	v_mul_lo_u32 v6, v5, s82                                   // 000000003460: D2850006 0000A505
	v_readlane_b32 s82, v3, 33                                 // 000000003468: D2890052 00014303
	s_and_b32 s82, s82, 0xffffff                               // 000000003470: 8652FF52 00FFFFFF
	v_mul_lo_u32 v7, v4, s82                                   // 000000003478: D2850007 0000A504
	v_add_u32_e32 v84, v6, v7                                  // 000000003480: 68A80F06
	v_mul_lo_u32 v84, v84, s68                                 // 000000003484: D2850054 00008954
	v_readlane_b32 s82, v3, 34                                 // 00000000348C: D2890052 00014503
	s_and_b32 s82, s82, 0xffffff                               // 000000003494: 8652FF52 00FFFFFF
	v_mul_lo_u32 v6, v5, s82                                   // 00000000349C: D2850006 0000A505
	v_readlane_b32 s82, v3, 35                                 // 0000000034A4: D2890052 00014703
	s_and_b32 s82, s82, 0xffffff                               // 0000000034AC: 8652FF52 00FFFFFF
	v_mul_lo_u32 v7, v4, s82                                   // 0000000034B4: D2850007 0000A504
	v_add_u32_e32 v85, v6, v7                                  // 0000000034BC: 68AA0F06
	v_mul_lo_u32 v85, v85, s68                                 // 0000000034C0: D2850055 00008955
	v_readlane_b32 s82, v3, 36                                 // 0000000034C8: D2890052 00014903
	s_and_b32 s82, s82, 0xffffff                               // 0000000034D0: 8652FF52 00FFFFFF
	v_mul_lo_u32 v6, v5, s82                                   // 0000000034D8: D2850006 0000A505
	v_readlane_b32 s82, v3, 37                                 // 0000000034E0: D2890052 00014B03
	s_and_b32 s82, s82, 0xffffff                               // 0000000034E8: 8652FF52 00FFFFFF
	v_mul_lo_u32 v7, v4, s82                                   // 0000000034F0: D2850007 0000A504
	v_add_u32_e32 v86, v6, v7                                  // 0000000034F8: 68AC0F06
	v_mul_lo_u32 v86, v86, s68                                 // 0000000034FC: D2850056 00008956
	v_readlane_b32 s82, v3, 38                                 // 000000003504: D2890052 00014D03
	s_and_b32 s82, s82, 0xffffff                               // 00000000350C: 8652FF52 00FFFFFF
	v_mul_lo_u32 v6, v5, s82                                   // 000000003514: D2850006 0000A505
	v_readlane_b32 s82, v3, 39                                 // 00000000351C: D2890052 00014F03
	s_and_b32 s82, s82, 0xffffff                               // 000000003524: 8652FF52 00FFFFFF
	v_mul_lo_u32 v7, v4, s82                                   // 00000000352C: D2850007 0000A504
	v_add_u32_e32 v87, v6, v7                                  // 000000003534: 68AE0F06
	v_mul_lo_u32 v87, v87, s68                                 // 000000003538: D2850057 00008957
	v_and_b32_e32 v4, 31, v0                                   // 000000003540: 2608009F
	v_lshlrev_b32_e32 v4, 2, v4                                // 000000003544: 24080882
	v_add_u32_e32 v68, v68, v4                                 // 000000003548: 68880944
	v_add_u32_e32 v69, v69, v4                                 // 00000000354C: 688A0945
	v_add_u32_e32 v70, v70, v4                                 // 000000003550: 688C0946
	v_add_u32_e32 v71, v71, v4                                 // 000000003554: 688E0947
	v_add_u32_e32 v72, v72, v4                                 // 000000003558: 68900948
	v_add_u32_e32 v73, v73, v4                                 // 00000000355C: 68920949
	v_add_u32_e32 v74, v74, v4                                 // 000000003560: 6894094A
	v_add_u32_e32 v75, v75, v4                                 // 000000003564: 6896094B
	v_add_u32_e32 v76, v76, v4                                 // 000000003568: 6898094C
	v_add_u32_e32 v77, v77, v4                                 // 00000000356C: 689A094D
	v_add_u32_e32 v78, v78, v4                                 // 000000003570: 689C094E
	v_add_u32_e32 v79, v79, v4                                 // 000000003574: 689E094F
	v_add_u32_e32 v80, v80, v4                                 // 000000003578: 68A00950
	v_add_u32_e32 v81, v81, v4                                 // 00000000357C: 68A20951
	v_add_u32_e32 v82, v82, v4                                 // 000000003580: 68A40952
	v_add_u32_e32 v83, v83, v4                                 // 000000003584: 68A60953
	v_add_u32_e32 v84, v84, v4                                 // 000000003588: 68A80954
	v_add_u32_e32 v85, v85, v4                                 // 00000000358C: 68AA0955
	v_add_u32_e32 v86, v86, v4                                 // 000000003590: 68AC0956
	v_add_u32_e32 v87, v87, v4                                 // 000000003594: 68AE0957
	v_and_b32_e32 v28, 0xffffff, v28                           // 000000003598: 263838FF 00FFFFFF
	v_lshlrev_b32_e32 v28, 2, v28                              // 0000000035A0: 24383882
	v_and_b32_e32 v29, 0xffffff, v29                           // 0000000035A4: 263A3AFF 00FFFFFF
	v_lshlrev_b32_e32 v29, 2, v29                              // 0000000035AC: 243A3A82
	v_and_b32_e32 v30, 0xffffff, v30                           // 0000000035B0: 263C3CFF 00FFFFFF
	v_lshlrev_b32_e32 v30, 2, v30                              // 0000000035B8: 243C3C82
	v_and_b32_e32 v31, 0xffffff, v31                           // 0000000035BC: 263E3EFF 00FFFFFF
	v_lshlrev_b32_e32 v31, 2, v31                              // 0000000035C4: 243E3E82
	v_and_b32_e32 v32, 0xffffff, v32                           // 0000000035C8: 264040FF 00FFFFFF
	v_lshlrev_b32_e32 v32, 2, v32                              // 0000000035D0: 24404082
	v_and_b32_e32 v33, 0xffffff, v33                           // 0000000035D4: 264242FF 00FFFFFF
	v_lshlrev_b32_e32 v33, 2, v33                              // 0000000035DC: 24424282
	v_and_b32_e32 v34, 0xffffff, v34                           // 0000000035E0: 264444FF 00FFFFFF
	v_lshlrev_b32_e32 v34, 2, v34                              // 0000000035E8: 24444482
	v_and_b32_e32 v35, 0xffffff, v35                           // 0000000035EC: 264646FF 00FFFFFF
	v_lshlrev_b32_e32 v35, 2, v35                              // 0000000035F4: 24464682
	v_and_b32_e32 v36, 0xffffff, v36                           // 0000000035F8: 264848FF 00FFFFFF
	v_lshlrev_b32_e32 v36, 2, v36                              // 000000003600: 24484882
	v_and_b32_e32 v37, 0xffffff, v37                           // 000000003604: 264A4AFF 00FFFFFF
	v_lshlrev_b32_e32 v37, 2, v37                              // 00000000360C: 244A4A82
	s_lshl_b32 s3, s66, 2                                      // 000000003610: 8E038242
	buffer_load_dword v38, v28, s[28:31], 0 offen              // 000000003614: E0501000 8007261C
	buffer_load_dword v39, v29, s[28:31], 0 offen              // 00000000361C: E0501000 8007271D
	buffer_load_dword v40, v30, s[28:31], 0 offen              // 000000003624: E0501000 8007281E
	buffer_load_dword v41, v31, s[28:31], 0 offen              // 00000000362C: E0501000 8007291F
	buffer_load_dword v42, v32, s[28:31], 0 offen              // 000000003634: E0501000 80072A20
	buffer_load_dword v43, v33, s[28:31], 0 offen              // 00000000363C: E0501000 80072B21
	buffer_load_dword v44, v34, s[28:31], 0 offen              // 000000003644: E0501000 80072C22
	buffer_load_dword v45, v35, s[28:31], 0 offen              // 00000000364C: E0501000 80072D23
	buffer_load_dword v46, v36, s[28:31], 0 offen              // 000000003654: E0501000 80072E24
	buffer_load_dword v47, v37, s[28:31], 0 offen              // 00000000365C: E0501000 80072F25
	buffer_load_dword v24, v22, s[32:35], 0 offen              // 000000003664: E0501000 80081816
	s_mul_i32 s60, 4, s65                                      // 00000000366C: 923C4184
	s_add_u32 s32, s60, s32                                    // 000000003670: 8020203C
	s_addc_u32 s33, 0, s33                                     // 000000003674: 82212180
	buffer_load_dword v26, v22, s[32:35], 0 offen              // 000000003678: E0501000 80081A16
	buffer_load_dword v68, s[20:23], 0 offen lds               // 000000003680: E0511000 80050044
	s_add_u32 m0, 0x100, s48                                   // 000000003688: 807C30FF 00000100
	buffer_load_dword v69, s[20:23], 0 offen lds               // 000000003690: E0511000 80050045
	s_add_u32 m0, 0x200, s48                                   // 000000003698: 807C30FF 00000200
	buffer_load_dword v70, s[20:23], 0 offen lds               // 0000000036A0: E0511000 80050046
	s_add_u32 m0, 0x300, s48                                   // 0000000036A8: 807C30FF 00000300
	buffer_load_dword v71, s[20:23], 0 offen lds               // 0000000036B0: E0511000 80050047
	s_add_u32 m0, 0x400, s48                                   // 0000000036B8: 807C30FF 00000400
	buffer_load_dword v72, s[20:23], 0 offen lds               // 0000000036C0: E0511000 80050048
	s_add_u32 m0, 0x500, s48                                   // 0000000036C8: 807C30FF 00000500
	buffer_load_dword v73, s[20:23], 0 offen lds               // 0000000036D0: E0511000 80050049
	s_add_u32 m0, 0x600, s48                                   // 0000000036D8: 807C30FF 00000600
	buffer_load_dword v74, s[20:23], 0 offen lds               // 0000000036E0: E0511000 8005004A
	s_add_u32 m0, 0x700, s48                                   // 0000000036E8: 807C30FF 00000700
	buffer_load_dword v75, s[20:23], 0 offen lds               // 0000000036F0: E0511000 8005004B
	s_add_u32 m0, 0x800, s48                                   // 0000000036F8: 807C30FF 00000800
	buffer_load_dword v76, s[20:23], 0 offen lds               // 000000003700: E0511000 8005004C
	s_add_u32 m0, 0x900, s48                                   // 000000003708: 807C30FF 00000900
	buffer_load_dword v77, s[20:23], 0 offen lds               // 000000003710: E0511000 8005004D
	s_add_u32 m0, 0xa00, s48                                   // 000000003718: 807C30FF 00000A00
	buffer_load_dword v78, s[20:23], 0 offen lds               // 000000003720: E0511000 8005004E
	s_add_u32 m0, 0xb00, s48                                   // 000000003728: 807C30FF 00000B00
	buffer_load_dword v79, s[20:23], 0 offen lds               // 000000003730: E0511000 8005004F
	s_add_u32 m0, 0xc00, s48                                   // 000000003738: 807C30FF 00000C00
	buffer_load_dword v80, s[20:23], 0 offen lds               // 000000003740: E0511000 80050050
	s_add_u32 m0, 0xd00, s48                                   // 000000003748: 807C30FF 00000D00
	buffer_load_dword v81, s[20:23], 0 offen lds               // 000000003750: E0511000 80050051
	s_add_u32 m0, 0xe00, s48                                   // 000000003758: 807C30FF 00000E00
	buffer_load_dword v82, s[20:23], 0 offen lds               // 000000003760: E0511000 80050052
	s_add_u32 m0, 0xf00, s48                                   // 000000003768: 807C30FF 00000F00
	buffer_load_dword v83, s[20:23], 0 offen lds               // 000000003770: E0511000 80050053
	s_add_u32 m0, 0x1000, s48                                  // 000000003778: 807C30FF 00001000
	buffer_load_dword v84, s[20:23], 0 offen lds               // 000000003780: E0511000 80050054
	s_add_u32 m0, 0x1100, s48                                  // 000000003788: 807C30FF 00001100
	;; [unrolled: 2-line block ×3, first 2 shown]
	buffer_load_dword v86, s[20:23], 0 offen lds               // 0000000037A0: E0511000 80050056
	s_add_u32 m0, 0x1300, s48                                  // 0000000037A8: 807C30FF 00001300
	buffer_load_dword v87, s[20:23], 0 offen lds               // 0000000037B0: E0511000 80050057
	s_add_u32 m0, 0, s49                                       // 0000000037B8: 807C3180
	s_add_u32 s20, s57, s20                                    // 0000000037BC: 80141439
	s_addc_u32 s21, 0, s21                                     // 0000000037C0: 82151580
	buffer_load_dword v68, s[20:23], 0 offen lds               // 0000000037C4: E0511000 80050044
	s_add_u32 m0, 0x100, s49                                   // 0000000037CC: 807C31FF 00000100
	buffer_load_dword v69, s[20:23], 0 offen lds               // 0000000037D4: E0511000 80050045
	s_add_u32 m0, 0x200, s49                                   // 0000000037DC: 807C31FF 00000200
	buffer_load_dword v70, s[20:23], 0 offen lds               // 0000000037E4: E0511000 80050046
	s_add_u32 m0, 0x300, s49                                   // 0000000037EC: 807C31FF 00000300
	buffer_load_dword v71, s[20:23], 0 offen lds               // 0000000037F4: E0511000 80050047
	s_add_u32 m0, 0x400, s49                                   // 0000000037FC: 807C31FF 00000400
	buffer_load_dword v72, s[20:23], 0 offen lds               // 000000003804: E0511000 80050048
	s_add_u32 m0, 0x500, s49                                   // 00000000380C: 807C31FF 00000500
	buffer_load_dword v73, s[20:23], 0 offen lds               // 000000003814: E0511000 80050049
	s_add_u32 m0, 0x600, s49                                   // 00000000381C: 807C31FF 00000600
	buffer_load_dword v74, s[20:23], 0 offen lds               // 000000003824: E0511000 8005004A
	s_add_u32 m0, 0x700, s49                                   // 00000000382C: 807C31FF 00000700
	buffer_load_dword v75, s[20:23], 0 offen lds               // 000000003834: E0511000 8005004B
	s_add_u32 m0, 0x800, s49                                   // 00000000383C: 807C31FF 00000800
	buffer_load_dword v76, s[20:23], 0 offen lds               // 000000003844: E0511000 8005004C
	s_add_u32 m0, 0x900, s49                                   // 00000000384C: 807C31FF 00000900
	buffer_load_dword v77, s[20:23], 0 offen lds               // 000000003854: E0511000 8005004D
	s_add_u32 m0, 0xa00, s49                                   // 00000000385C: 807C31FF 00000A00
	buffer_load_dword v78, s[20:23], 0 offen lds               // 000000003864: E0511000 8005004E
	s_add_u32 m0, 0xb00, s49                                   // 00000000386C: 807C31FF 00000B00
	buffer_load_dword v79, s[20:23], 0 offen lds               // 000000003874: E0511000 8005004F
	s_add_u32 m0, 0xc00, s49                                   // 00000000387C: 807C31FF 00000C00
	buffer_load_dword v80, s[20:23], 0 offen lds               // 000000003884: E0511000 80050050
	s_add_u32 m0, 0xd00, s49                                   // 00000000388C: 807C31FF 00000D00
	buffer_load_dword v81, s[20:23], 0 offen lds               // 000000003894: E0511000 80050051
	s_add_u32 m0, 0xe00, s49                                   // 00000000389C: 807C31FF 00000E00
	buffer_load_dword v82, s[20:23], 0 offen lds               // 0000000038A4: E0511000 80050052
	s_add_u32 m0, 0xf00, s49                                   // 0000000038AC: 807C31FF 00000F00
	buffer_load_dword v83, s[20:23], 0 offen lds               // 0000000038B4: E0511000 80050053
	s_add_u32 m0, 0x1000, s49                                  // 0000000038BC: 807C31FF 00001000
	buffer_load_dword v84, s[20:23], 0 offen lds               // 0000000038C4: E0511000 80050054
	s_add_u32 m0, 0x1100, s49                                  // 0000000038CC: 807C31FF 00001100
	buffer_load_dword v85, s[20:23], 0 offen lds               // 0000000038D4: E0511000 80050055
	s_add_u32 m0, 0x1200, s49                                  // 0000000038DC: 807C31FF 00001200
	buffer_load_dword v86, s[20:23], 0 offen lds               // 0000000038E4: E0511000 80050056
	s_add_u32 m0, 0x1300, s49                                  // 0000000038EC: 807C31FF 00001300
	buffer_load_dword v87, s[20:23], 0 offen lds               // 0000000038F4: E0511000 80050057
	s_add_u32 m0, 0, s48                                       // 0000000038FC: 807C3080
	s_add_u32 s20, s57, s20                                    // 000000003900: 80141439
	s_addc_u32 s21, 0, s21                                     // 000000003904: 82151580
	buffer_load_dwordx4 a[160:163], v88, s[24:27], 0 offen     // 000000003908: E05C1000 8086A058
	buffer_load_dwordx4 a[164:167], v88, s[24:27], 0 offen offset:1024// 000000003910: E05C1400 8086A458
	s_add_u32 s24, s58, s24                                    // 000000003918: 8018183A
	s_addc_u32 s25, 0, s25                                     // 00000000391C: 82191980
	s_waitcnt vmcnt(22)                                        // 000000003920: BF8C4F76
	s_barrier                                                  // 000000003924: BF8A0000
	ds_read_b128 a[0:3], v2                                    // 000000003928: DBFE0000 00000002
	ds_read_b128 a[4:7], v2 offset:64                          // 000000003930: DBFE0040 04000002
	ds_read_b128 a[8:11], v2 offset:512                        // 000000003938: DBFE0200 08000002
	ds_read_b128 a[12:15], v2 offset:576                       // 000000003940: DBFE0240 0C000002
	ds_read_b128 a[16:19], v2 offset:1024                      // 000000003948: DBFE0400 10000002
	ds_read_b128 a[20:23], v2 offset:1088                      // 000000003950: DBFE0440 14000002
	ds_read_b128 a[24:27], v2 offset:1536                      // 000000003958: DBFE0600 18000002
	ds_read_b128 a[28:31], v2 offset:1600                      // 000000003960: DBFE0640 1C000002
	ds_read_b128 a[32:35], v2 offset:2048                      // 000000003968: DBFE0800 20000002
	ds_read_b128 a[36:39], v2 offset:2112                      // 000000003970: DBFE0840 24000002
	ds_read_b128 a[40:43], v2 offset:2560                      // 000000003978: DBFE0A00 28000002
	ds_read_b128 a[44:47], v2 offset:2624                      // 000000003980: DBFE0A40 2C000002
	ds_read_b128 a[48:51], v2 offset:3072                      // 000000003988: DBFE0C00 30000002
	ds_read_b128 a[52:55], v2 offset:3136                      // 000000003990: DBFE0C40 34000002
	ds_read_b128 a[56:59], v2 offset:3584                      // 000000003998: DBFE0E00 38000002
	ds_read_b128 a[60:63], v2 offset:3648                      // 0000000039A0: DBFE0E40 3C000002
	ds_read_b128 a[64:67], v2 offset:4096                      // 0000000039A8: DBFE1000 40000002
	ds_read_b128 a[68:71], v2 offset:4160                      // 0000000039B0: DBFE1040 44000002
	ds_read_b128 a[72:75], v2 offset:4608                      // 0000000039B8: DBFE1200 48000002
	ds_read_b128 a[76:79], v2 offset:4672                      // 0000000039C0: DBFE1240 4C000002
	s_cmp_lt_i32 s7, 2                                         // 0000000039C8: BF048207
	s_cbranch_scc0 label_174D                                  // 0000000039CC: BF841356

00000000000039d0 <label_03F4>:
	s_waitcnt vmcnt(0) lgkmcnt(0)                              // 0000000039D0: BF8C0070
	s_barrier                                                  // 0000000039D4: BF8A0000
	v_mfma_f32_16x16x32_fp8_fp8 v[92:95], a[160:161], a[0:1], v[92:95]// 0000000039D8: D3F3005C 1D7201A0
	v_mfma_f32_16x16x32_fp8_fp8 v[92:95], a[162:163], a[2:3], v[92:95]// 0000000039E0: D3F3005C 1D7205A2
	buffer_load_dwordx4 a[168:171], v88, s[84:87], 0 offen     // 0000000039E8: E05C1000 8095A858
	v_mfma_f32_16x16x32_fp8_fp8 v[92:95], a[164:165], a[4:5], v[92:95]// 0000000039F0: D3F3005C 1D7209A4
	v_mfma_f32_16x16x32_fp8_fp8 v[92:95], a[166:167], a[6:7], v[92:95]// 0000000039F8: D3F3005C 1D720DA6
	v_mfma_f32_16x16x32_fp8_fp8 v[96:99], a[160:161], a[8:9], v[96:99]// 000000003A00: D3F30060 1D8211A0
	v_mfma_f32_16x16x32_fp8_fp8 v[96:99], a[162:163], a[10:11], v[96:99]// 000000003A08: D3F30060 1D8215A2
	buffer_load_dwordx4 a[172:175], v88, s[84:87], 0 offen offset:1024// 000000003A10: E05C1400 8095AC58
	buffer_load_dword v68, s[20:23], 0 offen lds               // 000000003A18: E0511000 80050044
	s_add_u32 m0, 0x100, s48                                   // 000000003A20: 807C30FF 00000100
	v_mfma_f32_16x16x32_fp8_fp8 v[96:99], a[164:165], a[12:13], v[96:99]// 000000003A28: D3F30060 1D8219A4
	v_mfma_f32_16x16x32_fp8_fp8 v[96:99], a[166:167], a[14:15], v[96:99]// 000000003A30: D3F30060 1D821DA6
	buffer_load_dword v69, s[20:23], 0 offen lds               // 000000003A38: E0511000 80050045
	s_add_u32 m0, 0x200, s48                                   // 000000003A40: 807C30FF 00000200
	v_mfma_f32_16x16x32_fp8_fp8 v[100:103], a[160:161], a[16:17], v[100:103]// 000000003A48: D3F30064 1D9221A0
	v_mfma_f32_16x16x32_fp8_fp8 v[100:103], a[162:163], a[18:19], v[100:103]// 000000003A50: D3F30064 1D9225A2
	buffer_load_dword v70, s[20:23], 0 offen lds               // 000000003A58: E0511000 80050046
	s_add_u32 m0, 0x300, s48                                   // 000000003A60: 807C30FF 00000300
	v_mfma_f32_16x16x32_fp8_fp8 v[100:103], a[164:165], a[20:21], v[100:103]// 000000003A68: D3F30064 1D9229A4
	v_mfma_f32_16x16x32_fp8_fp8 v[100:103], a[166:167], a[22:23], v[100:103]// 000000003A70: D3F30064 1D922DA6
	buffer_load_dword v71, s[20:23], 0 offen lds               // 000000003A78: E0511000 80050047
	s_add_u32 m0, 0x400, s48                                   // 000000003A80: 807C30FF 00000400
	v_mfma_f32_16x16x32_fp8_fp8 v[104:107], a[160:161], a[24:25], v[104:107]// 000000003A88: D3F30068 1DA231A0
	v_mfma_f32_16x16x32_fp8_fp8 v[104:107], a[162:163], a[26:27], v[104:107]// 000000003A90: D3F30068 1DA235A2
	buffer_load_dword v72, s[20:23], 0 offen lds               // 000000003A98: E0511000 80050048
	s_add_u32 m0, 0x500, s48                                   // 000000003AA0: 807C30FF 00000500
	v_mfma_f32_16x16x32_fp8_fp8 v[104:107], a[164:165], a[28:29], v[104:107]// 000000003AA8: D3F30068 1DA239A4
	v_mfma_f32_16x16x32_fp8_fp8 v[104:107], a[166:167], a[30:31], v[104:107]// 000000003AB0: D3F30068 1DA23DA6
	buffer_load_dword v73, s[20:23], 0 offen lds               // 000000003AB8: E0511000 80050049
	s_add_u32 m0, 0x600, s48                                   // 000000003AC0: 807C30FF 00000600
	v_mfma_f32_16x16x32_fp8_fp8 v[108:111], a[160:161], a[32:33], v[108:111]// 000000003AC8: D3F3006C 1DB241A0
	v_mfma_f32_16x16x32_fp8_fp8 v[108:111], a[162:163], a[34:35], v[108:111]// 000000003AD0: D3F3006C 1DB245A2
	buffer_load_dword v74, s[20:23], 0 offen lds               // 000000003AD8: E0511000 8005004A
	s_add_u32 m0, 0x700, s48                                   // 000000003AE0: 807C30FF 00000700
	v_mfma_f32_16x16x32_fp8_fp8 v[108:111], a[164:165], a[36:37], v[108:111]// 000000003AE8: D3F3006C 1DB249A4
	v_mfma_f32_16x16x32_fp8_fp8 v[108:111], a[166:167], a[38:39], v[108:111]// 000000003AF0: D3F3006C 1DB24DA6
	buffer_load_dword v75, s[20:23], 0 offen lds               // 000000003AF8: E0511000 8005004B
	s_add_u32 m0, 0x800, s48                                   // 000000003B00: 807C30FF 00000800
	v_mfma_f32_16x16x32_fp8_fp8 v[112:115], a[160:161], a[40:41], v[112:115]// 000000003B08: D3F30070 1DC251A0
	v_mfma_f32_16x16x32_fp8_fp8 v[112:115], a[162:163], a[42:43], v[112:115]// 000000003B10: D3F30070 1DC255A2
	buffer_load_dword v76, s[20:23], 0 offen lds               // 000000003B18: E0511000 8005004C
	s_add_u32 m0, 0x900, s48                                   // 000000003B20: 807C30FF 00000900
	v_mfma_f32_16x16x32_fp8_fp8 v[112:115], a[164:165], a[44:45], v[112:115]// 000000003B28: D3F30070 1DC259A4
	v_mfma_f32_16x16x32_fp8_fp8 v[112:115], a[166:167], a[46:47], v[112:115]// 000000003B30: D3F30070 1DC25DA6
	buffer_load_dword v77, s[20:23], 0 offen lds               // 000000003B38: E0511000 8005004D
	s_add_u32 m0, 0xa00, s48                                   // 000000003B40: 807C30FF 00000A00
	v_mfma_f32_16x16x32_fp8_fp8 v[116:119], a[160:161], a[48:49], v[116:119]// 000000003B48: D3F30074 1DD261A0
	v_mfma_f32_16x16x32_fp8_fp8 v[116:119], a[162:163], a[50:51], v[116:119]// 000000003B50: D3F30074 1DD265A2
	buffer_load_dword v78, s[20:23], 0 offen lds               // 000000003B58: E0511000 8005004E
	s_add_u32 m0, 0xb00, s48                                   // 000000003B60: 807C30FF 00000B00
	v_mfma_f32_16x16x32_fp8_fp8 v[116:119], a[164:165], a[52:53], v[116:119]// 000000003B68: D3F30074 1DD269A4
	v_mfma_f32_16x16x32_fp8_fp8 v[116:119], a[166:167], a[54:55], v[116:119]// 000000003B70: D3F30074 1DD26DA6
	buffer_load_dword v79, s[20:23], 0 offen lds               // 000000003B78: E0511000 8005004F
	s_add_u32 m0, 0xc00, s48                                   // 000000003B80: 807C30FF 00000C00
	v_mfma_f32_16x16x32_fp8_fp8 v[120:123], a[160:161], a[56:57], v[120:123]// 000000003B88: D3F30078 1DE271A0
	v_mfma_f32_16x16x32_fp8_fp8 v[120:123], a[162:163], a[58:59], v[120:123]// 000000003B90: D3F30078 1DE275A2
	buffer_load_dword v80, s[20:23], 0 offen lds               // 000000003B98: E0511000 80050050
	s_add_u32 m0, 0xd00, s48                                   // 000000003BA0: 807C30FF 00000D00
	v_mfma_f32_16x16x32_fp8_fp8 v[120:123], a[164:165], a[60:61], v[120:123]// 000000003BA8: D3F30078 1DE279A4
	v_mfma_f32_16x16x32_fp8_fp8 v[120:123], a[166:167], a[62:63], v[120:123]// 000000003BB0: D3F30078 1DE27DA6
	buffer_load_dword v81, s[20:23], 0 offen lds               // 000000003BB8: E0511000 80050051
	s_add_u32 m0, 0xe00, s48                                   // 000000003BC0: 807C30FF 00000E00
	v_mfma_f32_16x16x32_fp8_fp8 v[124:127], a[160:161], a[64:65], v[124:127]// 000000003BC8: D3F3007C 1DF281A0
	v_mfma_f32_16x16x32_fp8_fp8 v[124:127], a[162:163], a[66:67], v[124:127]// 000000003BD0: D3F3007C 1DF285A2
	buffer_load_dword v82, s[20:23], 0 offen lds               // 000000003BD8: E0511000 80050052
	s_add_u32 m0, 0xf00, s48                                   // 000000003BE0: 807C30FF 00000F00
	v_mfma_f32_16x16x32_fp8_fp8 v[124:127], a[164:165], a[68:69], v[124:127]// 000000003BE8: D3F3007C 1DF289A4
	v_mfma_f32_16x16x32_fp8_fp8 v[124:127], a[166:167], a[70:71], v[124:127]// 000000003BF0: D3F3007C 1DF28DA6
	buffer_load_dword v83, s[20:23], 0 offen lds               // 000000003BF8: E0511000 80050053
	s_add_u32 m0, 0x1000, s48                                  // 000000003C00: 807C30FF 00001000
	v_mfma_f32_16x16x32_fp8_fp8 v[128:131], a[160:161], a[72:73], v[128:131]// 000000003C08: D3F30080 1E0291A0
	v_mfma_f32_16x16x32_fp8_fp8 v[128:131], a[162:163], a[74:75], v[128:131]// 000000003C10: D3F30080 1E0295A2
	buffer_load_dword v84, s[20:23], 0 offen lds               // 000000003C18: E0511000 80050054
	s_add_u32 m0, 0x1100, s48                                  // 000000003C20: 807C30FF 00001100
	s_add_u32 s60, 0x80, s80                                   // 000000003C28: 803C50FF 00000080
	s_cmp_lt_u32 s60, s81                                      // 000000003C30: BF0A513C
	s_cselect_b32 s83, s83, 0                                  // 000000003C34: 85538053
	v_mfma_f32_16x16x32_fp8_fp8 v[128:131], a[164:165], a[76:77], v[128:131]// 000000003C38: D3F30080 1E0299A4
	v_mfma_f32_16x16x32_fp8_fp8 v[128:131], a[166:167], a[78:79], v[128:131]// 000000003C40: D3F30080 1E029DA6
	buffer_load_dword v85, s[20:23], 0 offen lds               // 000000003C48: E0511000 80050055
	s_add_u32 m0, 0x1200, s48                                  // 000000003C50: 807C30FF 00001200
	buffer_load_dword v86, s[20:23], 0 offen lds               // 000000003C58: E0511000 80050056
	s_add_u32 m0, 0x1300, s48                                  // 000000003C60: 807C30FF 00001300
	buffer_load_dword v87, s[20:23], 0 offen lds               // 000000003C68: E0511000 80050057
	s_add_u32 m0, 0, s49                                       // 000000003C70: 807C3180
	s_waitcnt vmcnt(20)                                        // 000000003C74: BF8C4F74
	v_mfma_f32_16x16x32_fp8_fp8 v[132:135], a[168:169], a[0:1], v[132:135]// 000000003C78: D3F30084 1E1201A8
	v_mfma_f32_16x16x32_fp8_fp8 v[132:135], a[170:171], a[2:3], v[132:135]// 000000003C80: D3F30084 1E1205AA
	buffer_load_dwordx4 a[160:163], v88, s[24:27], 0 offen     // 000000003C88: E05C1000 8086A058
	v_mfma_f32_16x16x32_fp8_fp8 v[132:135], a[172:173], a[4:5], v[132:135]// 000000003C90: D3F30084 1E1209AC
	v_mfma_f32_16x16x32_fp8_fp8 v[132:135], a[174:175], a[6:7], v[132:135]// 000000003C98: D3F30084 1E120DAE
	ds_read_b128 a[80:83], v2 offset:20608                     // 000000003CA0: DBFE5080 50000002
	ds_read_b128 a[84:87], v2 offset:20672                     // 000000003CA8: DBFE50C0 54000002
	v_mfma_f32_16x16x32_fp8_fp8 v[136:139], a[168:169], a[8:9], v[136:139]// 000000003CB0: D3F30088 1E2211A8
	v_mfma_f32_16x16x32_fp8_fp8 v[136:139], a[170:171], a[10:11], v[136:139]// 000000003CB8: D3F30088 1E2215AA
	buffer_load_dwordx4 a[164:167], v88, s[24:27], 0 offen offset:1024// 000000003CC0: E05C1400 8086A458
	v_mfma_f32_16x16x32_fp8_fp8 v[136:139], a[172:173], a[12:13], v[136:139]// 000000003CC8: D3F30088 1E2219AC
	v_mfma_f32_16x16x32_fp8_fp8 v[136:139], a[174:175], a[14:15], v[136:139]// 000000003CD0: D3F30088 1E221DAE
	ds_read_b128 a[88:91], v2 offset:21120                     // 000000003CD8: DBFE5280 58000002
	ds_read_b128 a[92:95], v2 offset:21184                     // 000000003CE0: DBFE52C0 5C000002
	v_mfma_f32_16x16x32_fp8_fp8 v[140:143], a[168:169], a[16:17], v[140:143]// 000000003CE8: D3F3008C 1E3221A8
	v_mfma_f32_16x16x32_fp8_fp8 v[140:143], a[170:171], a[18:19], v[140:143]// 000000003CF0: D3F3008C 1E3225AA
	v_mfma_f32_16x16x32_fp8_fp8 v[140:143], a[172:173], a[20:21], v[140:143]// 000000003CF8: D3F3008C 1E3229AC
	v_mfma_f32_16x16x32_fp8_fp8 v[140:143], a[174:175], a[22:23], v[140:143]// 000000003D00: D3F3008C 1E322DAE
	ds_read_b128 a[96:99], v2 offset:21632                     // 000000003D08: DBFE5480 60000002
	ds_read_b128 a[100:103], v2 offset:21696                   // 000000003D10: DBFE54C0 64000002
	v_mfma_f32_16x16x32_fp8_fp8 v[144:147], a[168:169], a[24:25], v[144:147]// 000000003D18: D3F30090 1E4231A8
	v_mfma_f32_16x16x32_fp8_fp8 v[144:147], a[170:171], a[26:27], v[144:147]// 000000003D20: D3F30090 1E4235AA
	v_mfma_f32_16x16x32_fp8_fp8 v[144:147], a[172:173], a[28:29], v[144:147]// 000000003D28: D3F30090 1E4239AC
	v_mfma_f32_16x16x32_fp8_fp8 v[144:147], a[174:175], a[30:31], v[144:147]// 000000003D30: D3F30090 1E423DAE
	ds_read_b128 a[104:107], v2 offset:22144                   // 000000003D38: DBFE5680 68000002
	ds_read_b128 a[108:111], v2 offset:22208                   // 000000003D40: DBFE56C0 6C000002
	v_mfma_f32_16x16x32_fp8_fp8 v[148:151], a[168:169], a[32:33], v[148:151]// 000000003D48: D3F30094 1E5241A8
	v_mfma_f32_16x16x32_fp8_fp8 v[148:151], a[170:171], a[34:35], v[148:151]// 000000003D50: D3F30094 1E5245AA
	v_mfma_f32_16x16x32_fp8_fp8 v[148:151], a[172:173], a[36:37], v[148:151]// 000000003D58: D3F30094 1E5249AC
	v_mfma_f32_16x16x32_fp8_fp8 v[148:151], a[174:175], a[38:39], v[148:151]// 000000003D60: D3F30094 1E524DAE
	ds_read_b128 a[112:115], v2 offset:22656                   // 000000003D68: DBFE5880 70000002
	ds_read_b128 a[116:119], v2 offset:22720                   // 000000003D70: DBFE58C0 74000002
	v_mfma_f32_16x16x32_fp8_fp8 v[152:155], a[168:169], a[40:41], v[152:155]// 000000003D78: D3F30098 1E6251A8
	v_mfma_f32_16x16x32_fp8_fp8 v[152:155], a[170:171], a[42:43], v[152:155]// 000000003D80: D3F30098 1E6255AA
	v_mfma_f32_16x16x32_fp8_fp8 v[152:155], a[172:173], a[44:45], v[152:155]// 000000003D88: D3F30098 1E6259AC
	v_mfma_f32_16x16x32_fp8_fp8 v[152:155], a[174:175], a[46:47], v[152:155]// 000000003D90: D3F30098 1E625DAE
	ds_read_b128 a[120:123], v2 offset:23168                   // 000000003D98: DBFE5A80 78000002
	ds_read_b128 a[124:127], v2 offset:23232                   // 000000003DA0: DBFE5AC0 7C000002
	v_mfma_f32_16x16x32_fp8_fp8 v[156:159], a[168:169], a[48:49], v[156:159]// 000000003DA8: D3F3009C 1E7261A8
	v_mfma_f32_16x16x32_fp8_fp8 v[156:159], a[170:171], a[50:51], v[156:159]// 000000003DB0: D3F3009C 1E7265AA
	v_mfma_f32_16x16x32_fp8_fp8 v[156:159], a[172:173], a[52:53], v[156:159]// 000000003DB8: D3F3009C 1E7269AC
	v_mfma_f32_16x16x32_fp8_fp8 v[156:159], a[174:175], a[54:55], v[156:159]// 000000003DC0: D3F3009C 1E726DAE
	ds_read_b128 a[128:131], v2 offset:23680                   // 000000003DC8: DBFE5C80 80000002
	ds_read_b128 a[132:135], v2 offset:23744                   // 000000003DD0: DBFE5CC0 84000002
	v_mfma_f32_16x16x32_fp8_fp8 v[160:163], a[168:169], a[56:57], v[160:163]// 000000003DD8: D3F300A0 1E8271A8
	v_mfma_f32_16x16x32_fp8_fp8 v[160:163], a[170:171], a[58:59], v[160:163]// 000000003DE0: D3F300A0 1E8275AA
	v_mfma_f32_16x16x32_fp8_fp8 v[160:163], a[172:173], a[60:61], v[160:163]// 000000003DE8: D3F300A0 1E8279AC
	v_mfma_f32_16x16x32_fp8_fp8 v[160:163], a[174:175], a[62:63], v[160:163]// 000000003DF0: D3F300A0 1E827DAE
	ds_read_b128 a[136:139], v2 offset:24192                   // 000000003DF8: DBFE5E80 88000002
	ds_read_b128 a[140:143], v2 offset:24256                   // 000000003E00: DBFE5EC0 8C000002
	v_mfma_f32_16x16x32_fp8_fp8 v[164:167], a[168:169], a[64:65], v[164:167]// 000000003E08: D3F300A4 1E9281A8
	v_mfma_f32_16x16x32_fp8_fp8 v[164:167], a[170:171], a[66:67], v[164:167]// 000000003E10: D3F300A4 1E9285AA
	v_mfma_f32_16x16x32_fp8_fp8 v[164:167], a[172:173], a[68:69], v[164:167]// 000000003E18: D3F300A4 1E9289AC
	s_add_u32 s60, 0x180, s80                                  // 000000003E20: 803C50FF 00000180
	s_cmp_lt_u32 s60, s81                                      // 000000003E28: BF0A513C
	s_cselect_b32 s57, s57, 0                                  // 000000003E2C: 85398039
	v_mfma_f32_16x16x32_fp8_fp8 v[164:167], a[174:175], a[70:71], v[164:167]// 000000003E30: D3F300A4 1E928DAE
	ds_read_b128 a[144:147], v2 offset:24704                   // 000000003E38: DBFE6080 90000002
	ds_read_b128 a[148:151], v2 offset:24768                   // 000000003E40: DBFE60C0 94000002
	s_add_u32 s60, 0x100, s80                                  // 000000003E48: 803C50FF 00000100
	s_cmp_lt_u32 s60, s81                                      // 000000003E50: BF0A513C
	s_cselect_b32 s58, s58, 0                                  // 000000003E54: 853A803A
	v_mfma_f32_16x16x32_fp8_fp8 v[168:171], a[168:169], a[72:73], v[168:171]// 000000003E58: D3F300A8 1EA291A8
	s_add_u32 s24, s58, s24                                    // 000000003E60: 8018183A
	s_addc_u32 s25, 0, s25                                     // 000000003E64: 82191980
	v_mfma_f32_16x16x32_fp8_fp8 v[168:171], a[170:171], a[74:75], v[168:171]// 000000003E68: D3F300A8 1EA295AA
	s_add_u32 s20, s57, s20                                    // 000000003E70: 80141439
	s_addc_u32 s21, 0, s21                                     // 000000003E74: 82151580
	v_mfma_f32_16x16x32_fp8_fp8 v[168:171], a[172:173], a[76:77], v[168:171]// 000000003E78: D3F300A8 1EA299AC
	s_add_u32 s84, s83, s84                                    // 000000003E80: 80545453
	s_addc_u32 s85, 0, s85                                     // 000000003E84: 82555580
	v_mfma_f32_16x16x32_fp8_fp8 v[168:171], a[174:175], a[78:79], v[168:171]// 000000003E88: D3F300A8 1EA29DAE
	ds_read_b128 a[152:155], v2 offset:25216                   // 000000003E90: DBFE6280 98000002
	ds_read_b128 a[156:159], v2 offset:25280                   // 000000003E98: DBFE62C0 9C000002
	s_addk_i32 s80, 0x80                                       // 000000003EA0: B7500080
	s_cmp_lt_i32 s80, s81                                      // 000000003EA4: BF045150
	s_cbranch_scc0 label_0663                                  // 000000003EA8: BF840138
	s_waitcnt vmcnt(0) lgkmcnt(0)                              // 000000003EAC: BF8C0070
	s_barrier                                                  // 000000003EB0: BF8A0000
	v_mfma_f32_16x16x32_fp8_fp8 v[92:95], a[160:161], a[80:81], v[92:95]// 000000003EB4: D3F3005C 1D72A1A0
	v_mfma_f32_16x16x32_fp8_fp8 v[92:95], a[162:163], a[82:83], v[92:95]// 000000003EBC: D3F3005C 1D72A5A2
	buffer_load_dwordx4 a[168:171], v88, s[84:87], 0 offen     // 000000003EC4: E05C1000 8095A858
	v_mfma_f32_16x16x32_fp8_fp8 v[92:95], a[164:165], a[84:85], v[92:95]// 000000003ECC: D3F3005C 1D72A9A4
	v_mfma_f32_16x16x32_fp8_fp8 v[92:95], a[166:167], a[86:87], v[92:95]// 000000003ED4: D3F3005C 1D72ADA6
	v_mfma_f32_16x16x32_fp8_fp8 v[96:99], a[160:161], a[88:89], v[96:99]// 000000003EDC: D3F30060 1D82B1A0
	v_mfma_f32_16x16x32_fp8_fp8 v[96:99], a[162:163], a[90:91], v[96:99]// 000000003EE4: D3F30060 1D82B5A2
	buffer_load_dwordx4 a[172:175], v88, s[84:87], 0 offen offset:1024// 000000003EEC: E05C1400 8095AC58
	buffer_load_dword v68, s[20:23], 0 offen lds               // 000000003EF4: E0511000 80050044
	s_add_u32 m0, 0x100, s49                                   // 000000003EFC: 807C31FF 00000100
	v_mfma_f32_16x16x32_fp8_fp8 v[96:99], a[164:165], a[92:93], v[96:99]// 000000003F04: D3F30060 1D82B9A4
	v_mfma_f32_16x16x32_fp8_fp8 v[96:99], a[166:167], a[94:95], v[96:99]// 000000003F0C: D3F30060 1D82BDA6
	buffer_load_dword v69, s[20:23], 0 offen lds               // 000000003F14: E0511000 80050045
	s_add_u32 m0, 0x200, s49                                   // 000000003F1C: 807C31FF 00000200
	v_mfma_f32_16x16x32_fp8_fp8 v[100:103], a[160:161], a[96:97], v[100:103]// 000000003F24: D3F30064 1D92C1A0
	v_mfma_f32_16x16x32_fp8_fp8 v[100:103], a[162:163], a[98:99], v[100:103]// 000000003F2C: D3F30064 1D92C5A2
	buffer_load_dword v70, s[20:23], 0 offen lds               // 000000003F34: E0511000 80050046
	s_add_u32 m0, 0x300, s49                                   // 000000003F3C: 807C31FF 00000300
	v_mfma_f32_16x16x32_fp8_fp8 v[100:103], a[164:165], a[100:101], v[100:103]// 000000003F44: D3F30064 1D92C9A4
	v_mfma_f32_16x16x32_fp8_fp8 v[100:103], a[166:167], a[102:103], v[100:103]// 000000003F4C: D3F30064 1D92CDA6
	buffer_load_dword v71, s[20:23], 0 offen lds               // 000000003F54: E0511000 80050047
	s_add_u32 m0, 0x400, s49                                   // 000000003F5C: 807C31FF 00000400
	v_mfma_f32_16x16x32_fp8_fp8 v[104:107], a[160:161], a[104:105], v[104:107]// 000000003F64: D3F30068 1DA2D1A0
	v_mfma_f32_16x16x32_fp8_fp8 v[104:107], a[162:163], a[106:107], v[104:107]// 000000003F6C: D3F30068 1DA2D5A2
	buffer_load_dword v72, s[20:23], 0 offen lds               // 000000003F74: E0511000 80050048
	s_add_u32 m0, 0x500, s49                                   // 000000003F7C: 807C31FF 00000500
	v_mfma_f32_16x16x32_fp8_fp8 v[104:107], a[164:165], a[108:109], v[104:107]// 000000003F84: D3F30068 1DA2D9A4
	v_mfma_f32_16x16x32_fp8_fp8 v[104:107], a[166:167], a[110:111], v[104:107]// 000000003F8C: D3F30068 1DA2DDA6
	buffer_load_dword v73, s[20:23], 0 offen lds               // 000000003F94: E0511000 80050049
	s_add_u32 m0, 0x600, s49                                   // 000000003F9C: 807C31FF 00000600
	v_mfma_f32_16x16x32_fp8_fp8 v[108:111], a[160:161], a[112:113], v[108:111]// 000000003FA4: D3F3006C 1DB2E1A0
	v_mfma_f32_16x16x32_fp8_fp8 v[108:111], a[162:163], a[114:115], v[108:111]// 000000003FAC: D3F3006C 1DB2E5A2
	buffer_load_dword v74, s[20:23], 0 offen lds               // 000000003FB4: E0511000 8005004A
	s_add_u32 m0, 0x700, s49                                   // 000000003FBC: 807C31FF 00000700
	v_mfma_f32_16x16x32_fp8_fp8 v[108:111], a[164:165], a[116:117], v[108:111]// 000000003FC4: D3F3006C 1DB2E9A4
	v_mfma_f32_16x16x32_fp8_fp8 v[108:111], a[166:167], a[118:119], v[108:111]// 000000003FCC: D3F3006C 1DB2EDA6
	buffer_load_dword v75, s[20:23], 0 offen lds               // 000000003FD4: E0511000 8005004B
	s_add_u32 m0, 0x800, s49                                   // 000000003FDC: 807C31FF 00000800
	v_mfma_f32_16x16x32_fp8_fp8 v[112:115], a[160:161], a[120:121], v[112:115]// 000000003FE4: D3F30070 1DC2F1A0
	v_mfma_f32_16x16x32_fp8_fp8 v[112:115], a[162:163], a[122:123], v[112:115]// 000000003FEC: D3F30070 1DC2F5A2
	buffer_load_dword v76, s[20:23], 0 offen lds               // 000000003FF4: E0511000 8005004C
	s_add_u32 m0, 0x900, s49                                   // 000000003FFC: 807C31FF 00000900
	v_mfma_f32_16x16x32_fp8_fp8 v[112:115], a[164:165], a[124:125], v[112:115]// 000000004004: D3F30070 1DC2F9A4
	v_mfma_f32_16x16x32_fp8_fp8 v[112:115], a[166:167], a[126:127], v[112:115]// 00000000400C: D3F30070 1DC2FDA6
	buffer_load_dword v77, s[20:23], 0 offen lds               // 000000004014: E0511000 8005004D
	s_add_u32 m0, 0xa00, s49                                   // 00000000401C: 807C31FF 00000A00
	v_mfma_f32_16x16x32_fp8_fp8 v[116:119], a[160:161], a[128:129], v[116:119]// 000000004024: D3F30074 1DD301A0
	v_mfma_f32_16x16x32_fp8_fp8 v[116:119], a[162:163], a[130:131], v[116:119]// 00000000402C: D3F30074 1DD305A2
	buffer_load_dword v78, s[20:23], 0 offen lds               // 000000004034: E0511000 8005004E
	s_add_u32 m0, 0xb00, s49                                   // 00000000403C: 807C31FF 00000B00
	v_mfma_f32_16x16x32_fp8_fp8 v[116:119], a[164:165], a[132:133], v[116:119]// 000000004044: D3F30074 1DD309A4
	v_mfma_f32_16x16x32_fp8_fp8 v[116:119], a[166:167], a[134:135], v[116:119]// 00000000404C: D3F30074 1DD30DA6
	buffer_load_dword v79, s[20:23], 0 offen lds               // 000000004054: E0511000 8005004F
	s_add_u32 m0, 0xc00, s49                                   // 00000000405C: 807C31FF 00000C00
	v_mfma_f32_16x16x32_fp8_fp8 v[120:123], a[160:161], a[136:137], v[120:123]// 000000004064: D3F30078 1DE311A0
	v_mfma_f32_16x16x32_fp8_fp8 v[120:123], a[162:163], a[138:139], v[120:123]// 00000000406C: D3F30078 1DE315A2
	buffer_load_dword v80, s[20:23], 0 offen lds               // 000000004074: E0511000 80050050
	s_add_u32 m0, 0xd00, s49                                   // 00000000407C: 807C31FF 00000D00
	v_mfma_f32_16x16x32_fp8_fp8 v[120:123], a[164:165], a[140:141], v[120:123]// 000000004084: D3F30078 1DE319A4
	v_mfma_f32_16x16x32_fp8_fp8 v[120:123], a[166:167], a[142:143], v[120:123]// 00000000408C: D3F30078 1DE31DA6
	buffer_load_dword v81, s[20:23], 0 offen lds               // 000000004094: E0511000 80050051
	s_add_u32 m0, 0xe00, s49                                   // 00000000409C: 807C31FF 00000E00
	v_mfma_f32_16x16x32_fp8_fp8 v[124:127], a[160:161], a[144:145], v[124:127]// 0000000040A4: D3F3007C 1DF321A0
	v_mfma_f32_16x16x32_fp8_fp8 v[124:127], a[162:163], a[146:147], v[124:127]// 0000000040AC: D3F3007C 1DF325A2
	buffer_load_dword v82, s[20:23], 0 offen lds               // 0000000040B4: E0511000 80050052
	s_add_u32 m0, 0xf00, s49                                   // 0000000040BC: 807C31FF 00000F00
	v_mfma_f32_16x16x32_fp8_fp8 v[124:127], a[164:165], a[148:149], v[124:127]// 0000000040C4: D3F3007C 1DF329A4
	v_mfma_f32_16x16x32_fp8_fp8 v[124:127], a[166:167], a[150:151], v[124:127]// 0000000040CC: D3F3007C 1DF32DA6
	buffer_load_dword v83, s[20:23], 0 offen lds               // 0000000040D4: E0511000 80050053
	s_add_u32 m0, 0x1000, s49                                  // 0000000040DC: 807C31FF 00001000
	v_mfma_f32_16x16x32_fp8_fp8 v[128:131], a[160:161], a[152:153], v[128:131]// 0000000040E4: D3F30080 1E0331A0
	v_mfma_f32_16x16x32_fp8_fp8 v[128:131], a[162:163], a[154:155], v[128:131]// 0000000040EC: D3F30080 1E0335A2
	buffer_load_dword v84, s[20:23], 0 offen lds               // 0000000040F4: E0511000 80050054
	s_add_u32 m0, 0x1100, s49                                  // 0000000040FC: 807C31FF 00001100
	s_add_u32 s60, 0x80, s80                                   // 000000004104: 803C50FF 00000080
	s_cmp_lt_u32 s60, s81                                      // 00000000410C: BF0A513C
	s_cselect_b32 s83, s83, 0                                  // 000000004110: 85538053
	v_mfma_f32_16x16x32_fp8_fp8 v[128:131], a[164:165], a[156:157], v[128:131]// 000000004114: D3F30080 1E0339A4
	v_mfma_f32_16x16x32_fp8_fp8 v[128:131], a[166:167], a[158:159], v[128:131]// 00000000411C: D3F30080 1E033DA6
	buffer_load_dword v85, s[20:23], 0 offen lds               // 000000004124: E0511000 80050055
	s_add_u32 m0, 0x1200, s49                                  // 00000000412C: 807C31FF 00001200
	buffer_load_dword v86, s[20:23], 0 offen lds               // 000000004134: E0511000 80050056
	s_add_u32 m0, 0x1300, s49                                  // 00000000413C: 807C31FF 00001300
	buffer_load_dword v87, s[20:23], 0 offen lds               // 000000004144: E0511000 80050057
	s_add_u32 m0, 0, s48                                       // 00000000414C: 807C3080
	s_waitcnt vmcnt(20)                                        // 000000004150: BF8C4F74
	v_mfma_f32_16x16x32_fp8_fp8 v[132:135], a[168:169], a[80:81], v[132:135]// 000000004154: D3F30084 1E12A1A8
	v_mfma_f32_16x16x32_fp8_fp8 v[132:135], a[170:171], a[82:83], v[132:135]// 00000000415C: D3F30084 1E12A5AA
	buffer_load_dwordx4 a[160:163], v88, s[24:27], 0 offen     // 000000004164: E05C1000 8086A058
	v_mfma_f32_16x16x32_fp8_fp8 v[132:135], a[172:173], a[84:85], v[132:135]// 00000000416C: D3F30084 1E12A9AC
	v_mfma_f32_16x16x32_fp8_fp8 v[132:135], a[174:175], a[86:87], v[132:135]// 000000004174: D3F30084 1E12ADAE
	ds_read_b128 a[0:3], v2                                    // 00000000417C: DBFE0000 00000002
	ds_read_b128 a[4:7], v2 offset:64                          // 000000004184: DBFE0040 04000002
	v_mfma_f32_16x16x32_fp8_fp8 v[136:139], a[168:169], a[88:89], v[136:139]// 00000000418C: D3F30088 1E22B1A8
	v_mfma_f32_16x16x32_fp8_fp8 v[136:139], a[170:171], a[90:91], v[136:139]// 000000004194: D3F30088 1E22B5AA
	buffer_load_dwordx4 a[164:167], v88, s[24:27], 0 offen offset:1024// 00000000419C: E05C1400 8086A458
	v_mfma_f32_16x16x32_fp8_fp8 v[136:139], a[172:173], a[92:93], v[136:139]// 0000000041A4: D3F30088 1E22B9AC
	v_mfma_f32_16x16x32_fp8_fp8 v[136:139], a[174:175], a[94:95], v[136:139]// 0000000041AC: D3F30088 1E22BDAE
	ds_read_b128 a[8:11], v2 offset:512                        // 0000000041B4: DBFE0200 08000002
	ds_read_b128 a[12:15], v2 offset:576                       // 0000000041BC: DBFE0240 0C000002
	v_mfma_f32_16x16x32_fp8_fp8 v[140:143], a[168:169], a[96:97], v[140:143]// 0000000041C4: D3F3008C 1E32C1A8
	v_mfma_f32_16x16x32_fp8_fp8 v[140:143], a[170:171], a[98:99], v[140:143]// 0000000041CC: D3F3008C 1E32C5AA
	v_mfma_f32_16x16x32_fp8_fp8 v[140:143], a[172:173], a[100:101], v[140:143]// 0000000041D4: D3F3008C 1E32C9AC
	v_mfma_f32_16x16x32_fp8_fp8 v[140:143], a[174:175], a[102:103], v[140:143]// 0000000041DC: D3F3008C 1E32CDAE
	ds_read_b128 a[16:19], v2 offset:1024                      // 0000000041E4: DBFE0400 10000002
	ds_read_b128 a[20:23], v2 offset:1088                      // 0000000041EC: DBFE0440 14000002
	v_mfma_f32_16x16x32_fp8_fp8 v[144:147], a[168:169], a[104:105], v[144:147]// 0000000041F4: D3F30090 1E42D1A8
	v_mfma_f32_16x16x32_fp8_fp8 v[144:147], a[170:171], a[106:107], v[144:147]// 0000000041FC: D3F30090 1E42D5AA
	v_mfma_f32_16x16x32_fp8_fp8 v[144:147], a[172:173], a[108:109], v[144:147]// 000000004204: D3F30090 1E42D9AC
	v_mfma_f32_16x16x32_fp8_fp8 v[144:147], a[174:175], a[110:111], v[144:147]// 00000000420C: D3F30090 1E42DDAE
	ds_read_b128 a[24:27], v2 offset:1536                      // 000000004214: DBFE0600 18000002
	ds_read_b128 a[28:31], v2 offset:1600                      // 00000000421C: DBFE0640 1C000002
	v_mfma_f32_16x16x32_fp8_fp8 v[148:151], a[168:169], a[112:113], v[148:151]// 000000004224: D3F30094 1E52E1A8
	v_mfma_f32_16x16x32_fp8_fp8 v[148:151], a[170:171], a[114:115], v[148:151]// 00000000422C: D3F30094 1E52E5AA
	v_mfma_f32_16x16x32_fp8_fp8 v[148:151], a[172:173], a[116:117], v[148:151]// 000000004234: D3F30094 1E52E9AC
	v_mfma_f32_16x16x32_fp8_fp8 v[148:151], a[174:175], a[118:119], v[148:151]// 00000000423C: D3F30094 1E52EDAE
	ds_read_b128 a[32:35], v2 offset:2048                      // 000000004244: DBFE0800 20000002
	ds_read_b128 a[36:39], v2 offset:2112                      // 00000000424C: DBFE0840 24000002
	v_mfma_f32_16x16x32_fp8_fp8 v[152:155], a[168:169], a[120:121], v[152:155]// 000000004254: D3F30098 1E62F1A8
	v_mfma_f32_16x16x32_fp8_fp8 v[152:155], a[170:171], a[122:123], v[152:155]// 00000000425C: D3F30098 1E62F5AA
	v_mfma_f32_16x16x32_fp8_fp8 v[152:155], a[172:173], a[124:125], v[152:155]// 000000004264: D3F30098 1E62F9AC
	v_mfma_f32_16x16x32_fp8_fp8 v[152:155], a[174:175], a[126:127], v[152:155]// 00000000426C: D3F30098 1E62FDAE
	ds_read_b128 a[40:43], v2 offset:2560                      // 000000004274: DBFE0A00 28000002
	ds_read_b128 a[44:47], v2 offset:2624                      // 00000000427C: DBFE0A40 2C000002
	v_mfma_f32_16x16x32_fp8_fp8 v[156:159], a[168:169], a[128:129], v[156:159]// 000000004284: D3F3009C 1E7301A8
	v_mfma_f32_16x16x32_fp8_fp8 v[156:159], a[170:171], a[130:131], v[156:159]// 00000000428C: D3F3009C 1E7305AA
	v_mfma_f32_16x16x32_fp8_fp8 v[156:159], a[172:173], a[132:133], v[156:159]// 000000004294: D3F3009C 1E7309AC
	v_mfma_f32_16x16x32_fp8_fp8 v[156:159], a[174:175], a[134:135], v[156:159]// 00000000429C: D3F3009C 1E730DAE
	ds_read_b128 a[48:51], v2 offset:3072                      // 0000000042A4: DBFE0C00 30000002
	ds_read_b128 a[52:55], v2 offset:3136                      // 0000000042AC: DBFE0C40 34000002
	v_mfma_f32_16x16x32_fp8_fp8 v[160:163], a[168:169], a[136:137], v[160:163]// 0000000042B4: D3F300A0 1E8311A8
	v_mfma_f32_16x16x32_fp8_fp8 v[160:163], a[170:171], a[138:139], v[160:163]// 0000000042BC: D3F300A0 1E8315AA
	v_mfma_f32_16x16x32_fp8_fp8 v[160:163], a[172:173], a[140:141], v[160:163]// 0000000042C4: D3F300A0 1E8319AC
	v_mfma_f32_16x16x32_fp8_fp8 v[160:163], a[174:175], a[142:143], v[160:163]// 0000000042CC: D3F300A0 1E831DAE
	ds_read_b128 a[56:59], v2 offset:3584                      // 0000000042D4: DBFE0E00 38000002
	ds_read_b128 a[60:63], v2 offset:3648                      // 0000000042DC: DBFE0E40 3C000002
	v_mfma_f32_16x16x32_fp8_fp8 v[164:167], a[168:169], a[144:145], v[164:167]// 0000000042E4: D3F300A4 1E9321A8
	v_mfma_f32_16x16x32_fp8_fp8 v[164:167], a[170:171], a[146:147], v[164:167]// 0000000042EC: D3F300A4 1E9325AA
	v_mfma_f32_16x16x32_fp8_fp8 v[164:167], a[172:173], a[148:149], v[164:167]// 0000000042F4: D3F300A4 1E9329AC
	s_add_u32 s60, 0x180, s80                                  // 0000000042FC: 803C50FF 00000180
	s_cmp_lt_u32 s60, s81                                      // 000000004304: BF0A513C
	s_cselect_b32 s57, s57, 0                                  // 000000004308: 85398039
	v_mfma_f32_16x16x32_fp8_fp8 v[164:167], a[174:175], a[150:151], v[164:167]// 00000000430C: D3F300A4 1E932DAE
	ds_read_b128 a[64:67], v2 offset:4096                      // 000000004314: DBFE1000 40000002
	ds_read_b128 a[68:71], v2 offset:4160                      // 00000000431C: DBFE1040 44000002
	s_add_u32 s60, 0x100, s80                                  // 000000004324: 803C50FF 00000100
	s_cmp_lt_u32 s60, s81                                      // 00000000432C: BF0A513C
	s_cselect_b32 s58, s58, 0                                  // 000000004330: 853A803A
	v_mfma_f32_16x16x32_fp8_fp8 v[168:171], a[168:169], a[152:153], v[168:171]// 000000004334: D3F300A8 1EA331A8
	s_add_u32 s24, s58, s24                                    // 00000000433C: 8018183A
	s_addc_u32 s25, 0, s25                                     // 000000004340: 82191980
	v_mfma_f32_16x16x32_fp8_fp8 v[168:171], a[170:171], a[154:155], v[168:171]// 000000004344: D3F300A8 1EA335AA
	s_add_u32 s20, s57, s20                                    // 00000000434C: 80141439
	s_addc_u32 s21, 0, s21                                     // 000000004350: 82151580
	v_mfma_f32_16x16x32_fp8_fp8 v[168:171], a[172:173], a[156:157], v[168:171]// 000000004354: D3F300A8 1EA339AC
	s_add_u32 s84, s83, s84                                    // 00000000435C: 80545453
	s_addc_u32 s85, 0, s85                                     // 000000004360: 82555580
	v_mfma_f32_16x16x32_fp8_fp8 v[168:171], a[174:175], a[158:159], v[168:171]// 000000004364: D3F300A8 1EA33DAE
	ds_read_b128 a[72:75], v2 offset:4608                      // 00000000436C: DBFE1200 48000002
	ds_read_b128 a[76:79], v2 offset:4672                      // 000000004374: DBFE1240 4C000002
	s_addk_i32 s80, 0x80                                       // 00000000437C: B7500080
	s_cmp_lt_i32 s80, s81                                      // 000000004380: BF045150
	s_cbranch_scc0 label_0663                                  // 000000004384: BF840001
	s_branch label_03F4                                        // 000000004388: BF82FD91

000000000000438c <label_0663>:
	v_mul_f32_dpp v92, v24, v92 row_newbcast:0 row_mask:0xf bank_mask:0xf// 00000000438C: 0AB8B8FA FF015018
	v_mul_f32_dpp v93, v24, v93 row_newbcast:1 row_mask:0xf bank_mask:0xf// 000000004394: 0ABABAFA FF015118
	v_mul_f32_dpp v94, v24, v94 row_newbcast:2 row_mask:0xf bank_mask:0xf// 00000000439C: 0ABCBCFA FF015218
	v_mul_f32_dpp v95, v24, v95 row_newbcast:3 row_mask:0xf bank_mask:0xf// 0000000043A4: 0ABEBEFA FF015318
	v_mul_f32_dpp v96, v24, v96 row_newbcast:0 row_mask:0xf bank_mask:0xf// 0000000043AC: 0AC0C0FA FF015018
	v_mul_f32_dpp v97, v24, v97 row_newbcast:1 row_mask:0xf bank_mask:0xf// 0000000043B4: 0AC2C2FA FF015118
	v_mul_f32_dpp v98, v24, v98 row_newbcast:2 row_mask:0xf bank_mask:0xf// 0000000043BC: 0AC4C4FA FF015218
	v_mul_f32_dpp v99, v24, v99 row_newbcast:3 row_mask:0xf bank_mask:0xf// 0000000043C4: 0AC6C6FA FF015318
	v_mul_f32_dpp v100, v24, v100 row_newbcast:0 row_mask:0xf bank_mask:0xf// 0000000043CC: 0AC8C8FA FF015018
	v_mul_f32_dpp v101, v24, v101 row_newbcast:1 row_mask:0xf bank_mask:0xf// 0000000043D4: 0ACACAFA FF015118
	v_mul_f32_dpp v102, v24, v102 row_newbcast:2 row_mask:0xf bank_mask:0xf// 0000000043DC: 0ACCCCFA FF015218
	v_mul_f32_dpp v103, v24, v103 row_newbcast:3 row_mask:0xf bank_mask:0xf// 0000000043E4: 0ACECEFA FF015318
	v_mul_f32_dpp v104, v24, v104 row_newbcast:0 row_mask:0xf bank_mask:0xf// 0000000043EC: 0AD0D0FA FF015018
	v_mul_f32_dpp v105, v24, v105 row_newbcast:1 row_mask:0xf bank_mask:0xf// 0000000043F4: 0AD2D2FA FF015118
	v_mul_f32_dpp v106, v24, v106 row_newbcast:2 row_mask:0xf bank_mask:0xf// 0000000043FC: 0AD4D4FA FF015218
	v_mul_f32_dpp v107, v24, v107 row_newbcast:3 row_mask:0xf bank_mask:0xf// 000000004404: 0AD6D6FA FF015318
	v_mul_f32_dpp v108, v24, v108 row_newbcast:0 row_mask:0xf bank_mask:0xf// 00000000440C: 0AD8D8FA FF015018
	v_mul_f32_dpp v109, v24, v109 row_newbcast:1 row_mask:0xf bank_mask:0xf// 000000004414: 0ADADAFA FF015118
	v_mul_f32_dpp v110, v24, v110 row_newbcast:2 row_mask:0xf bank_mask:0xf// 00000000441C: 0ADCDCFA FF015218
	v_mul_f32_dpp v111, v24, v111 row_newbcast:3 row_mask:0xf bank_mask:0xf// 000000004424: 0ADEDEFA FF015318
	v_mul_f32_dpp v112, v24, v112 row_newbcast:0 row_mask:0xf bank_mask:0xf// 00000000442C: 0AE0E0FA FF015018
	v_mul_f32_dpp v113, v24, v113 row_newbcast:1 row_mask:0xf bank_mask:0xf// 000000004434: 0AE2E2FA FF015118
	v_mul_f32_dpp v114, v24, v114 row_newbcast:2 row_mask:0xf bank_mask:0xf// 00000000443C: 0AE4E4FA FF015218
	v_mul_f32_dpp v115, v24, v115 row_newbcast:3 row_mask:0xf bank_mask:0xf// 000000004444: 0AE6E6FA FF015318
	v_mul_f32_dpp v116, v24, v116 row_newbcast:0 row_mask:0xf bank_mask:0xf// 00000000444C: 0AE8E8FA FF015018
	v_mul_f32_dpp v117, v24, v117 row_newbcast:1 row_mask:0xf bank_mask:0xf// 000000004454: 0AEAEAFA FF015118
	v_mul_f32_dpp v118, v24, v118 row_newbcast:2 row_mask:0xf bank_mask:0xf// 00000000445C: 0AECECFA FF015218
	v_mul_f32_dpp v119, v24, v119 row_newbcast:3 row_mask:0xf bank_mask:0xf// 000000004464: 0AEEEEFA FF015318
	v_mul_f32_dpp v120, v24, v120 row_newbcast:0 row_mask:0xf bank_mask:0xf// 00000000446C: 0AF0F0FA FF015018
	v_mul_f32_dpp v121, v24, v121 row_newbcast:1 row_mask:0xf bank_mask:0xf// 000000004474: 0AF2F2FA FF015118
	v_mul_f32_dpp v122, v24, v122 row_newbcast:2 row_mask:0xf bank_mask:0xf// 00000000447C: 0AF4F4FA FF015218
	v_mul_f32_dpp v123, v24, v123 row_newbcast:3 row_mask:0xf bank_mask:0xf// 000000004484: 0AF6F6FA FF015318
	v_mul_f32_dpp v124, v24, v124 row_newbcast:0 row_mask:0xf bank_mask:0xf// 00000000448C: 0AF8F8FA FF015018
	v_mul_f32_dpp v125, v24, v125 row_newbcast:1 row_mask:0xf bank_mask:0xf// 000000004494: 0AFAFAFA FF015118
	v_mul_f32_dpp v126, v24, v126 row_newbcast:2 row_mask:0xf bank_mask:0xf// 00000000449C: 0AFCFCFA FF015218
	v_mul_f32_dpp v127, v24, v127 row_newbcast:3 row_mask:0xf bank_mask:0xf// 0000000044A4: 0AFEFEFA FF015318
	v_mul_f32_dpp v128, v24, v128 row_newbcast:0 row_mask:0xf bank_mask:0xf// 0000000044AC: 0B0100FA FF015018
	v_mul_f32_dpp v129, v24, v129 row_newbcast:1 row_mask:0xf bank_mask:0xf// 0000000044B4: 0B0302FA FF015118
	v_mul_f32_dpp v130, v24, v130 row_newbcast:2 row_mask:0xf bank_mask:0xf// 0000000044BC: 0B0504FA FF015218
	v_mul_f32_dpp v131, v24, v131 row_newbcast:3 row_mask:0xf bank_mask:0xf// 0000000044C4: 0B0706FA FF015318
	v_mul_f32_dpp v132, v26, v132 row_newbcast:0 row_mask:0xf bank_mask:0xf// 0000000044CC: 0B0908FA FF01501A
	v_mul_f32_dpp v133, v26, v133 row_newbcast:1 row_mask:0xf bank_mask:0xf// 0000000044D4: 0B0B0AFA FF01511A
	v_mul_f32_dpp v134, v26, v134 row_newbcast:2 row_mask:0xf bank_mask:0xf// 0000000044DC: 0B0D0CFA FF01521A
	v_mul_f32_dpp v135, v26, v135 row_newbcast:3 row_mask:0xf bank_mask:0xf// 0000000044E4: 0B0F0EFA FF01531A
	v_mul_f32_dpp v136, v26, v136 row_newbcast:0 row_mask:0xf bank_mask:0xf// 0000000044EC: 0B1110FA FF01501A
	v_mul_f32_dpp v137, v26, v137 row_newbcast:1 row_mask:0xf bank_mask:0xf// 0000000044F4: 0B1312FA FF01511A
	v_mul_f32_dpp v138, v26, v138 row_newbcast:2 row_mask:0xf bank_mask:0xf// 0000000044FC: 0B1514FA FF01521A
	v_mul_f32_dpp v139, v26, v139 row_newbcast:3 row_mask:0xf bank_mask:0xf// 000000004504: 0B1716FA FF01531A
	v_mul_f32_dpp v140, v26, v140 row_newbcast:0 row_mask:0xf bank_mask:0xf// 00000000450C: 0B1918FA FF01501A
	v_mul_f32_dpp v141, v26, v141 row_newbcast:1 row_mask:0xf bank_mask:0xf// 000000004514: 0B1B1AFA FF01511A
	v_mul_f32_dpp v142, v26, v142 row_newbcast:2 row_mask:0xf bank_mask:0xf// 00000000451C: 0B1D1CFA FF01521A
	v_mul_f32_dpp v143, v26, v143 row_newbcast:3 row_mask:0xf bank_mask:0xf// 000000004524: 0B1F1EFA FF01531A
	v_mul_f32_dpp v144, v26, v144 row_newbcast:0 row_mask:0xf bank_mask:0xf// 00000000452C: 0B2120FA FF01501A
	v_mul_f32_dpp v145, v26, v145 row_newbcast:1 row_mask:0xf bank_mask:0xf// 000000004534: 0B2322FA FF01511A
	v_mul_f32_dpp v146, v26, v146 row_newbcast:2 row_mask:0xf bank_mask:0xf// 00000000453C: 0B2524FA FF01521A
	v_mul_f32_dpp v147, v26, v147 row_newbcast:3 row_mask:0xf bank_mask:0xf// 000000004544: 0B2726FA FF01531A
	v_mul_f32_dpp v148, v26, v148 row_newbcast:0 row_mask:0xf bank_mask:0xf// 00000000454C: 0B2928FA FF01501A
	v_mul_f32_dpp v149, v26, v149 row_newbcast:1 row_mask:0xf bank_mask:0xf// 000000004554: 0B2B2AFA FF01511A
	v_mul_f32_dpp v150, v26, v150 row_newbcast:2 row_mask:0xf bank_mask:0xf// 00000000455C: 0B2D2CFA FF01521A
	v_mul_f32_dpp v151, v26, v151 row_newbcast:3 row_mask:0xf bank_mask:0xf// 000000004564: 0B2F2EFA FF01531A
	v_mul_f32_dpp v152, v26, v152 row_newbcast:0 row_mask:0xf bank_mask:0xf// 00000000456C: 0B3130FA FF01501A
	v_mul_f32_dpp v153, v26, v153 row_newbcast:1 row_mask:0xf bank_mask:0xf// 000000004574: 0B3332FA FF01511A
	v_mul_f32_dpp v154, v26, v154 row_newbcast:2 row_mask:0xf bank_mask:0xf// 00000000457C: 0B3534FA FF01521A
	v_mul_f32_dpp v155, v26, v155 row_newbcast:3 row_mask:0xf bank_mask:0xf// 000000004584: 0B3736FA FF01531A
	v_mul_f32_dpp v156, v26, v156 row_newbcast:0 row_mask:0xf bank_mask:0xf// 00000000458C: 0B3938FA FF01501A
	v_mul_f32_dpp v157, v26, v157 row_newbcast:1 row_mask:0xf bank_mask:0xf// 000000004594: 0B3B3AFA FF01511A
	v_mul_f32_dpp v158, v26, v158 row_newbcast:2 row_mask:0xf bank_mask:0xf// 00000000459C: 0B3D3CFA FF01521A
	v_mul_f32_dpp v159, v26, v159 row_newbcast:3 row_mask:0xf bank_mask:0xf// 0000000045A4: 0B3F3EFA FF01531A
	v_mul_f32_dpp v160, v26, v160 row_newbcast:0 row_mask:0xf bank_mask:0xf// 0000000045AC: 0B4140FA FF01501A
	v_mul_f32_dpp v161, v26, v161 row_newbcast:1 row_mask:0xf bank_mask:0xf// 0000000045B4: 0B4342FA FF01511A
	v_mul_f32_dpp v162, v26, v162 row_newbcast:2 row_mask:0xf bank_mask:0xf// 0000000045BC: 0B4544FA FF01521A
	v_mul_f32_dpp v163, v26, v163 row_newbcast:3 row_mask:0xf bank_mask:0xf// 0000000045C4: 0B4746FA FF01531A
	v_mul_f32_dpp v164, v26, v164 row_newbcast:0 row_mask:0xf bank_mask:0xf// 0000000045CC: 0B4948FA FF01501A
	v_mul_f32_dpp v165, v26, v165 row_newbcast:1 row_mask:0xf bank_mask:0xf// 0000000045D4: 0B4B4AFA FF01511A
	v_mul_f32_dpp v166, v26, v166 row_newbcast:2 row_mask:0xf bank_mask:0xf// 0000000045DC: 0B4D4CFA FF01521A
	v_mul_f32_dpp v167, v26, v167 row_newbcast:3 row_mask:0xf bank_mask:0xf// 0000000045E4: 0B4F4EFA FF01531A
	v_mul_f32_dpp v168, v26, v168 row_newbcast:0 row_mask:0xf bank_mask:0xf// 0000000045EC: 0B5150FA FF01501A
	v_mul_f32_dpp v169, v26, v169 row_newbcast:1 row_mask:0xf bank_mask:0xf// 0000000045F4: 0B5352FA FF01511A
	v_mul_f32_dpp v170, v26, v170 row_newbcast:2 row_mask:0xf bank_mask:0xf// 0000000045FC: 0B5554FA FF01521A
	v_mul_f32_dpp v171, v26, v171 row_newbcast:3 row_mask:0xf bank_mask:0xf// 000000004604: 0B5756FA FF01531A
	v_mul_f32_e32 v38, v38, v172                               // 00000000460C: 0A4D5926
	v_mov_b32_e32 v4, v38                                      // 000000004610: 7E080326
	v_mov_b32_e32 v5, v4                                       // 000000004614: 7E0A0304
	v_pk_mul_f32 v[92:93], v[4:5], v[92:93]                    // 000000004618: D3B1405C 1802B904
	v_pk_mul_f32 v[132:133], v[4:5], v[132:133]                // 000000004620: D3B14084 18030904
	v_pk_mul_f32 v[94:95], v[4:5], v[94:95]                    // 000000004628: D3B1405E 1802BD04
	v_pk_mul_f32 v[134:135], v[4:5], v[134:135]                // 000000004630: D3B14086 18030D04
	v_mul_f32_e32 v39, v39, v173                               // 000000004638: 0A4F5B27
	v_mov_b32_e32 v4, v39                                      // 00000000463C: 7E080327
	v_mov_b32_e32 v5, v4                                       // 000000004640: 7E0A0304
	v_pk_mul_f32 v[96:97], v[4:5], v[96:97]                    // 000000004644: D3B14060 1802C104
	v_pk_mul_f32 v[136:137], v[4:5], v[136:137]                // 00000000464C: D3B14088 18031104
	v_pk_mul_f32 v[98:99], v[4:5], v[98:99]                    // 000000004654: D3B14062 1802C504
	v_pk_mul_f32 v[138:139], v[4:5], v[138:139]                // 00000000465C: D3B1408A 18031504
	v_mul_f32_e32 v40, v40, v174                               // 000000004664: 0A515D28
	v_mov_b32_e32 v4, v40                                      // 000000004668: 7E080328
	v_mov_b32_e32 v5, v4                                       // 00000000466C: 7E0A0304
	v_pk_mul_f32 v[100:101], v[4:5], v[100:101]                // 000000004670: D3B14064 1802C904
	v_pk_mul_f32 v[140:141], v[4:5], v[140:141]                // 000000004678: D3B1408C 18031904
	v_pk_mul_f32 v[102:103], v[4:5], v[102:103]                // 000000004680: D3B14066 1802CD04
	v_pk_mul_f32 v[142:143], v[4:5], v[142:143]                // 000000004688: D3B1408E 18031D04
	v_mul_f32_e32 v41, v41, v175                               // 000000004690: 0A535F29
	v_mov_b32_e32 v4, v41                                      // 000000004694: 7E080329
	v_mov_b32_e32 v5, v4                                       // 000000004698: 7E0A0304
	v_pk_mul_f32 v[104:105], v[4:5], v[104:105]                // 00000000469C: D3B14068 1802D104
	v_pk_mul_f32 v[144:145], v[4:5], v[144:145]                // 0000000046A4: D3B14090 18032104
	v_pk_mul_f32 v[106:107], v[4:5], v[106:107]                // 0000000046AC: D3B1406A 1802D504
	v_pk_mul_f32 v[146:147], v[4:5], v[146:147]                // 0000000046B4: D3B14092 18032504
	v_mul_f32_e32 v42, v42, v176                               // 0000000046BC: 0A55612A
	v_mov_b32_e32 v4, v42                                      // 0000000046C0: 7E08032A
	v_mov_b32_e32 v5, v4                                       // 0000000046C4: 7E0A0304
	v_pk_mul_f32 v[108:109], v[4:5], v[108:109]                // 0000000046C8: D3B1406C 1802D904
	v_pk_mul_f32 v[148:149], v[4:5], v[148:149]                // 0000000046D0: D3B14094 18032904
	v_pk_mul_f32 v[110:111], v[4:5], v[110:111]                // 0000000046D8: D3B1406E 1802DD04
	v_pk_mul_f32 v[150:151], v[4:5], v[150:151]                // 0000000046E0: D3B14096 18032D04
	v_mul_f32_e32 v43, v43, v177                               // 0000000046E8: 0A57632B
	v_mov_b32_e32 v4, v43                                      // 0000000046EC: 7E08032B
	v_mov_b32_e32 v5, v4                                       // 0000000046F0: 7E0A0304
	v_pk_mul_f32 v[112:113], v[4:5], v[112:113]                // 0000000046F4: D3B14070 1802E104
	v_pk_mul_f32 v[152:153], v[4:5], v[152:153]                // 0000000046FC: D3B14098 18033104
	v_pk_mul_f32 v[114:115], v[4:5], v[114:115]                // 000000004704: D3B14072 1802E504
	v_pk_mul_f32 v[154:155], v[4:5], v[154:155]                // 00000000470C: D3B1409A 18033504
	v_mul_f32_e32 v44, v44, v178                               // 000000004714: 0A59652C
	v_mov_b32_e32 v4, v44                                      // 000000004718: 7E08032C
	v_mov_b32_e32 v5, v4                                       // 00000000471C: 7E0A0304
	v_pk_mul_f32 v[116:117], v[4:5], v[116:117]                // 000000004720: D3B14074 1802E904
	v_pk_mul_f32 v[156:157], v[4:5], v[156:157]                // 000000004728: D3B1409C 18033904
	v_pk_mul_f32 v[118:119], v[4:5], v[118:119]                // 000000004730: D3B14076 1802ED04
	v_pk_mul_f32 v[158:159], v[4:5], v[158:159]                // 000000004738: D3B1409E 18033D04
	v_mul_f32_e32 v45, v45, v179                               // 000000004740: 0A5B672D
	v_mov_b32_e32 v4, v45                                      // 000000004744: 7E08032D
	v_mov_b32_e32 v5, v4                                       // 000000004748: 7E0A0304
	v_pk_mul_f32 v[120:121], v[4:5], v[120:121]                // 00000000474C: D3B14078 1802F104
	v_pk_mul_f32 v[160:161], v[4:5], v[160:161]                // 000000004754: D3B140A0 18034104
	v_pk_mul_f32 v[122:123], v[4:5], v[122:123]                // 00000000475C: D3B1407A 1802F504
	v_pk_mul_f32 v[162:163], v[4:5], v[162:163]                // 000000004764: D3B140A2 18034504
	v_mul_f32_e32 v46, v46, v180                               // 00000000476C: 0A5D692E
	v_mov_b32_e32 v4, v46                                      // 000000004770: 7E08032E
	v_mov_b32_e32 v5, v4                                       // 000000004774: 7E0A0304
	v_pk_mul_f32 v[124:125], v[4:5], v[124:125]                // 000000004778: D3B1407C 1802F904
	v_pk_mul_f32 v[164:165], v[4:5], v[164:165]                // 000000004780: D3B140A4 18034904
	v_pk_mul_f32 v[126:127], v[4:5], v[126:127]                // 000000004788: D3B1407E 1802FD04
	v_pk_mul_f32 v[166:167], v[4:5], v[166:167]                // 000000004790: D3B140A6 18034D04
	v_mul_f32_e32 v47, v47, v181                               // 000000004798: 0A5F6B2F
	v_mov_b32_e32 v4, v47                                      // 00000000479C: 7E08032F
	v_mov_b32_e32 v5, v4                                       // 0000000047A0: 7E0A0304
	v_pk_mul_f32 v[128:129], v[4:5], v[128:129]                // 0000000047A4: D3B14080 18030104
	v_pk_mul_f32 v[168:169], v[4:5], v[168:169]                // 0000000047AC: D3B140A8 18035104
	v_pk_mul_f32 v[130:131], v[4:5], v[130:131]                // 0000000047B4: D3B14082 18030504
	v_pk_mul_f32 v[170:171], v[4:5], v[170:171]                // 0000000047BC: D3B140AA 18035504
	s_cmp_eq_u32 s88, 0                                        // 0000000047C4: BF068058
	s_cbranch_scc0 label_0ED8                                  // 0000000047C8: BF840765
	s_cmp_eq_u32 s89, 0                                        // 0000000047CC: BF068059
	s_cbranch_scc1 label_090A                                  // 0000000047D0: BF850195
	v_mov_b32_e32 v8, v1                                       // 0000000047D4: 7E100301
	v_mov_b32_e32 v9, v1                                       // 0000000047D8: 7E120301
	s_mov_b32 s60, s6                                          // 0000000047DC: BEBC0006
	s_mov_b32 s61, s6                                          // 0000000047E0: BEBD0006
	v_pk_mul_f32 v[4:5], v[92:93], v[92:93]                    // 0000000047E4: D3B14004 1802B95C
	v_pk_mul_f32 v[6:7], v[94:95], v[94:95]                    // 0000000047EC: D3B14006 1802BD5E
	v_pk_fma_f32 v[4:5], v[4:5], s[78:79], v[8:9]              // 0000000047F4: D3B04004 1C209D04
	v_pk_fma_f32 v[6:7], v[6:7], s[78:79], v[8:9]              // 0000000047FC: D3B04006 1C209D06
	v_pk_mul_f32 v[4:5], v[4:5], v[92:93]                      // 000000004804: D3B14004 1802B904
	v_pk_mul_f32 v[6:7], v[6:7], v[94:95]                      // 00000000480C: D3B14006 1802BD06
	v_pk_mul_f32 v[4:5], v[4:5], s[60:61]                      // 000000004814: D3B14004 18007904
	v_pk_mul_f32 v[6:7], v[6:7], s[60:61]                      // 00000000481C: D3B14006 18007906
	v_exp_f32_e32 v4, v4                                       // 000000004824: 7E084104
	v_exp_f32_e32 v5, v5                                       // 000000004828: 7E0A4105
	v_exp_f32_e32 v6, v6                                       // 00000000482C: 7E0C4106
	v_exp_f32_e32 v7, v7                                       // 000000004830: 7E0E4107
	v_add_f32_e64 v4, v4, 1.0                                  // 000000004834: D1010004 0001E504
	v_add_f32_e64 v5, v5, 1.0                                  // 00000000483C: D1010005 0001E505
	v_add_f32_e64 v6, v6, 1.0                                  // 000000004844: D1010006 0001E506
	v_add_f32_e64 v7, v7, 1.0                                  // 00000000484C: D1010007 0001E507
	v_rcp_f32_e32 v4, v4                                       // 000000004854: 7E084504
	v_rcp_f32_e32 v5, v5                                       // 000000004858: 7E0A4505
	v_rcp_f32_e32 v6, v6                                       // 00000000485C: 7E0C4506
	v_rcp_f32_e32 v7, v7                                       // 000000004860: 7E0E4507
	v_mul_f32_e32 v92, v92, v4                                 // 000000004864: 0AB8095C
	v_mul_f32_e32 v93, v93, v5                                 // 000000004868: 0ABA0B5D
	v_mul_f32_e32 v94, v94, v6                                 // 00000000486C: 0ABC0D5E
	v_mul_f32_e32 v95, v95, v7                                 // 000000004870: 0ABE0F5F
	v_mul_f32_e32 v92, v92, v132                               // 000000004874: 0AB9095C
	v_mul_f32_e32 v93, v93, v133                               // 000000004878: 0ABB0B5D
	v_mul_f32_e32 v94, v94, v134                               // 00000000487C: 0ABD0D5E
	v_mul_f32_e32 v95, v95, v135                               // 000000004880: 0ABF0F5F
	v_pk_mul_f32 v[4:5], v[96:97], v[96:97]                    // 000000004884: D3B14004 1802C160
	v_pk_mul_f32 v[6:7], v[98:99], v[98:99]                    // 00000000488C: D3B14006 1802C562
	v_pk_fma_f32 v[4:5], v[4:5], s[78:79], v[8:9]              // 000000004894: D3B04004 1C209D04
	v_pk_fma_f32 v[6:7], v[6:7], s[78:79], v[8:9]              // 00000000489C: D3B04006 1C209D06
	v_pk_mul_f32 v[4:5], v[4:5], v[96:97]                      // 0000000048A4: D3B14004 1802C104
	v_pk_mul_f32 v[6:7], v[6:7], v[98:99]                      // 0000000048AC: D3B14006 1802C506
	v_pk_mul_f32 v[4:5], v[4:5], s[60:61]                      // 0000000048B4: D3B14004 18007904
	v_pk_mul_f32 v[6:7], v[6:7], s[60:61]                      // 0000000048BC: D3B14006 18007906
	v_exp_f32_e32 v4, v4                                       // 0000000048C4: 7E084104
	v_exp_f32_e32 v5, v5                                       // 0000000048C8: 7E0A4105
	v_exp_f32_e32 v6, v6                                       // 0000000048CC: 7E0C4106
	v_exp_f32_e32 v7, v7                                       // 0000000048D0: 7E0E4107
	v_add_f32_e64 v4, v4, 1.0                                  // 0000000048D4: D1010004 0001E504
	v_add_f32_e64 v5, v5, 1.0                                  // 0000000048DC: D1010005 0001E505
	v_add_f32_e64 v6, v6, 1.0                                  // 0000000048E4: D1010006 0001E506
	v_add_f32_e64 v7, v7, 1.0                                  // 0000000048EC: D1010007 0001E507
	v_rcp_f32_e32 v4, v4                                       // 0000000048F4: 7E084504
	v_rcp_f32_e32 v5, v5                                       // 0000000048F8: 7E0A4505
	v_rcp_f32_e32 v6, v6                                       // 0000000048FC: 7E0C4506
	v_rcp_f32_e32 v7, v7                                       // 000000004900: 7E0E4507
	v_mul_f32_e32 v96, v96, v4                                 // 000000004904: 0AC00960
	v_mul_f32_e32 v97, v97, v5                                 // 000000004908: 0AC20B61
	v_mul_f32_e32 v98, v98, v6                                 // 00000000490C: 0AC40D62
	v_mul_f32_e32 v99, v99, v7                                 // 000000004910: 0AC60F63
	v_mul_f32_e32 v96, v96, v136                               // 000000004914: 0AC11160
	v_mul_f32_e32 v97, v97, v137                               // 000000004918: 0AC31361
	v_mul_f32_e32 v98, v98, v138                               // 00000000491C: 0AC51562
	v_mul_f32_e32 v99, v99, v139                               // 000000004920: 0AC71763
	v_pk_mul_f32 v[4:5], v[100:101], v[100:101]                // 000000004924: D3B14004 1802C964
	v_pk_mul_f32 v[6:7], v[102:103], v[102:103]                // 00000000492C: D3B14006 1802CD66
	v_pk_fma_f32 v[4:5], v[4:5], s[78:79], v[8:9]              // 000000004934: D3B04004 1C209D04
	v_pk_fma_f32 v[6:7], v[6:7], s[78:79], v[8:9]              // 00000000493C: D3B04006 1C209D06
	v_pk_mul_f32 v[4:5], v[4:5], v[100:101]                    // 000000004944: D3B14004 1802C904
	v_pk_mul_f32 v[6:7], v[6:7], v[102:103]                    // 00000000494C: D3B14006 1802CD06
	v_pk_mul_f32 v[4:5], v[4:5], s[60:61]                      // 000000004954: D3B14004 18007904
	v_pk_mul_f32 v[6:7], v[6:7], s[60:61]                      // 00000000495C: D3B14006 18007906
	v_exp_f32_e32 v4, v4                                       // 000000004964: 7E084104
	v_exp_f32_e32 v5, v5                                       // 000000004968: 7E0A4105
	v_exp_f32_e32 v6, v6                                       // 00000000496C: 7E0C4106
	v_exp_f32_e32 v7, v7                                       // 000000004970: 7E0E4107
	v_add_f32_e64 v4, v4, 1.0                                  // 000000004974: D1010004 0001E504
	v_add_f32_e64 v5, v5, 1.0                                  // 00000000497C: D1010005 0001E505
	v_add_f32_e64 v6, v6, 1.0                                  // 000000004984: D1010006 0001E506
	v_add_f32_e64 v7, v7, 1.0                                  // 00000000498C: D1010007 0001E507
	v_rcp_f32_e32 v4, v4                                       // 000000004994: 7E084504
	v_rcp_f32_e32 v5, v5                                       // 000000004998: 7E0A4505
	v_rcp_f32_e32 v6, v6                                       // 00000000499C: 7E0C4506
	v_rcp_f32_e32 v7, v7                                       // 0000000049A0: 7E0E4507
	v_mul_f32_e32 v100, v100, v4                               // 0000000049A4: 0AC80964
	v_mul_f32_e32 v101, v101, v5                               // 0000000049A8: 0ACA0B65
	v_mul_f32_e32 v102, v102, v6                               // 0000000049AC: 0ACC0D66
	v_mul_f32_e32 v103, v103, v7                               // 0000000049B0: 0ACE0F67
	v_mul_f32_e32 v100, v100, v140                             // 0000000049B4: 0AC91964
	v_mul_f32_e32 v101, v101, v141                             // 0000000049B8: 0ACB1B65
	v_mul_f32_e32 v102, v102, v142                             // 0000000049BC: 0ACD1D66
	v_mul_f32_e32 v103, v103, v143                             // 0000000049C0: 0ACF1F67
	v_pk_mul_f32 v[4:5], v[104:105], v[104:105]                // 0000000049C4: D3B14004 1802D168
	v_pk_mul_f32 v[6:7], v[106:107], v[106:107]                // 0000000049CC: D3B14006 1802D56A
	v_pk_fma_f32 v[4:5], v[4:5], s[78:79], v[8:9]              // 0000000049D4: D3B04004 1C209D04
	v_pk_fma_f32 v[6:7], v[6:7], s[78:79], v[8:9]              // 0000000049DC: D3B04006 1C209D06
	v_pk_mul_f32 v[4:5], v[4:5], v[104:105]                    // 0000000049E4: D3B14004 1802D104
	v_pk_mul_f32 v[6:7], v[6:7], v[106:107]                    // 0000000049EC: D3B14006 1802D506
	v_pk_mul_f32 v[4:5], v[4:5], s[60:61]                      // 0000000049F4: D3B14004 18007904
	v_pk_mul_f32 v[6:7], v[6:7], s[60:61]                      // 0000000049FC: D3B14006 18007906
	v_exp_f32_e32 v4, v4                                       // 000000004A04: 7E084104
	v_exp_f32_e32 v5, v5                                       // 000000004A08: 7E0A4105
	v_exp_f32_e32 v6, v6                                       // 000000004A0C: 7E0C4106
	v_exp_f32_e32 v7, v7                                       // 000000004A10: 7E0E4107
	v_add_f32_e64 v4, v4, 1.0                                  // 000000004A14: D1010004 0001E504
	v_add_f32_e64 v5, v5, 1.0                                  // 000000004A1C: D1010005 0001E505
	v_add_f32_e64 v6, v6, 1.0                                  // 000000004A24: D1010006 0001E506
	v_add_f32_e64 v7, v7, 1.0                                  // 000000004A2C: D1010007 0001E507
	v_rcp_f32_e32 v4, v4                                       // 000000004A34: 7E084504
	v_rcp_f32_e32 v5, v5                                       // 000000004A38: 7E0A4505
	v_rcp_f32_e32 v6, v6                                       // 000000004A3C: 7E0C4506
	v_rcp_f32_e32 v7, v7                                       // 000000004A40: 7E0E4507
	v_mul_f32_e32 v104, v104, v4                               // 000000004A44: 0AD00968
	v_mul_f32_e32 v105, v105, v5                               // 000000004A48: 0AD20B69
	v_mul_f32_e32 v106, v106, v6                               // 000000004A4C: 0AD40D6A
	v_mul_f32_e32 v107, v107, v7                               // 000000004A50: 0AD60F6B
	v_mul_f32_e32 v104, v104, v144                             // 000000004A54: 0AD12168
	v_mul_f32_e32 v105, v105, v145                             // 000000004A58: 0AD32369
	v_mul_f32_e32 v106, v106, v146                             // 000000004A5C: 0AD5256A
	v_mul_f32_e32 v107, v107, v147                             // 000000004A60: 0AD7276B
	v_pk_mul_f32 v[4:5], v[108:109], v[108:109]                // 000000004A64: D3B14004 1802D96C
	v_pk_mul_f32 v[6:7], v[110:111], v[110:111]                // 000000004A6C: D3B14006 1802DD6E
	v_pk_fma_f32 v[4:5], v[4:5], s[78:79], v[8:9]              // 000000004A74: D3B04004 1C209D04
	v_pk_fma_f32 v[6:7], v[6:7], s[78:79], v[8:9]              // 000000004A7C: D3B04006 1C209D06
	v_pk_mul_f32 v[4:5], v[4:5], v[108:109]                    // 000000004A84: D3B14004 1802D904
	v_pk_mul_f32 v[6:7], v[6:7], v[110:111]                    // 000000004A8C: D3B14006 1802DD06
	v_pk_mul_f32 v[4:5], v[4:5], s[60:61]                      // 000000004A94: D3B14004 18007904
	v_pk_mul_f32 v[6:7], v[6:7], s[60:61]                      // 000000004A9C: D3B14006 18007906
	v_exp_f32_e32 v4, v4                                       // 000000004AA4: 7E084104
	v_exp_f32_e32 v5, v5                                       // 000000004AA8: 7E0A4105
	v_exp_f32_e32 v6, v6                                       // 000000004AAC: 7E0C4106
	v_exp_f32_e32 v7, v7                                       // 000000004AB0: 7E0E4107
	v_add_f32_e64 v4, v4, 1.0                                  // 000000004AB4: D1010004 0001E504
	v_add_f32_e64 v5, v5, 1.0                                  // 000000004ABC: D1010005 0001E505
	v_add_f32_e64 v6, v6, 1.0                                  // 000000004AC4: D1010006 0001E506
	v_add_f32_e64 v7, v7, 1.0                                  // 000000004ACC: D1010007 0001E507
	v_rcp_f32_e32 v4, v4                                       // 000000004AD4: 7E084504
	v_rcp_f32_e32 v5, v5                                       // 000000004AD8: 7E0A4505
	v_rcp_f32_e32 v6, v6                                       // 000000004ADC: 7E0C4506
	v_rcp_f32_e32 v7, v7                                       // 000000004AE0: 7E0E4507
	v_mul_f32_e32 v108, v108, v4                               // 000000004AE4: 0AD8096C
	v_mul_f32_e32 v109, v109, v5                               // 000000004AE8: 0ADA0B6D
	v_mul_f32_e32 v110, v110, v6                               // 000000004AEC: 0ADC0D6E
	v_mul_f32_e32 v111, v111, v7                               // 000000004AF0: 0ADE0F6F
	v_mul_f32_e32 v108, v108, v148                             // 000000004AF4: 0AD9296C
	v_mul_f32_e32 v109, v109, v149                             // 000000004AF8: 0ADB2B6D
	v_mul_f32_e32 v110, v110, v150                             // 000000004AFC: 0ADD2D6E
	v_mul_f32_e32 v111, v111, v151                             // 000000004B00: 0ADF2F6F
	v_pk_mul_f32 v[4:5], v[112:113], v[112:113]                // 000000004B04: D3B14004 1802E170
	v_pk_mul_f32 v[6:7], v[114:115], v[114:115]                // 000000004B0C: D3B14006 1802E572
	v_pk_fma_f32 v[4:5], v[4:5], s[78:79], v[8:9]              // 000000004B14: D3B04004 1C209D04
	v_pk_fma_f32 v[6:7], v[6:7], s[78:79], v[8:9]              // 000000004B1C: D3B04006 1C209D06
	v_pk_mul_f32 v[4:5], v[4:5], v[112:113]                    // 000000004B24: D3B14004 1802E104
	v_pk_mul_f32 v[6:7], v[6:7], v[114:115]                    // 000000004B2C: D3B14006 1802E506
	v_pk_mul_f32 v[4:5], v[4:5], s[60:61]                      // 000000004B34: D3B14004 18007904
	v_pk_mul_f32 v[6:7], v[6:7], s[60:61]                      // 000000004B3C: D3B14006 18007906
	v_exp_f32_e32 v4, v4                                       // 000000004B44: 7E084104
	v_exp_f32_e32 v5, v5                                       // 000000004B48: 7E0A4105
	v_exp_f32_e32 v6, v6                                       // 000000004B4C: 7E0C4106
	v_exp_f32_e32 v7, v7                                       // 000000004B50: 7E0E4107
	v_add_f32_e64 v4, v4, 1.0                                  // 000000004B54: D1010004 0001E504
	v_add_f32_e64 v5, v5, 1.0                                  // 000000004B5C: D1010005 0001E505
	v_add_f32_e64 v6, v6, 1.0                                  // 000000004B64: D1010006 0001E506
	v_add_f32_e64 v7, v7, 1.0                                  // 000000004B6C: D1010007 0001E507
	v_rcp_f32_e32 v4, v4                                       // 000000004B74: 7E084504
	v_rcp_f32_e32 v5, v5                                       // 000000004B78: 7E0A4505
	v_rcp_f32_e32 v6, v6                                       // 000000004B7C: 7E0C4506
	v_rcp_f32_e32 v7, v7                                       // 000000004B80: 7E0E4507
	v_mul_f32_e32 v112, v112, v4                               // 000000004B84: 0AE00970
	v_mul_f32_e32 v113, v113, v5                               // 000000004B88: 0AE20B71
	v_mul_f32_e32 v114, v114, v6                               // 000000004B8C: 0AE40D72
	v_mul_f32_e32 v115, v115, v7                               // 000000004B90: 0AE60F73
	v_mul_f32_e32 v112, v112, v152                             // 000000004B94: 0AE13170
	v_mul_f32_e32 v113, v113, v153                             // 000000004B98: 0AE33371
	v_mul_f32_e32 v114, v114, v154                             // 000000004B9C: 0AE53572
	v_mul_f32_e32 v115, v115, v155                             // 000000004BA0: 0AE73773
	v_pk_mul_f32 v[4:5], v[116:117], v[116:117]                // 000000004BA4: D3B14004 1802E974
	v_pk_mul_f32 v[6:7], v[118:119], v[118:119]                // 000000004BAC: D3B14006 1802ED76
	v_pk_fma_f32 v[4:5], v[4:5], s[78:79], v[8:9]              // 000000004BB4: D3B04004 1C209D04
	v_pk_fma_f32 v[6:7], v[6:7], s[78:79], v[8:9]              // 000000004BBC: D3B04006 1C209D06
	v_pk_mul_f32 v[4:5], v[4:5], v[116:117]                    // 000000004BC4: D3B14004 1802E904
	v_pk_mul_f32 v[6:7], v[6:7], v[118:119]                    // 000000004BCC: D3B14006 1802ED06
	v_pk_mul_f32 v[4:5], v[4:5], s[60:61]                      // 000000004BD4: D3B14004 18007904
	v_pk_mul_f32 v[6:7], v[6:7], s[60:61]                      // 000000004BDC: D3B14006 18007906
	v_exp_f32_e32 v4, v4                                       // 000000004BE4: 7E084104
	v_exp_f32_e32 v5, v5                                       // 000000004BE8: 7E0A4105
	v_exp_f32_e32 v6, v6                                       // 000000004BEC: 7E0C4106
	v_exp_f32_e32 v7, v7                                       // 000000004BF0: 7E0E4107
	v_add_f32_e64 v4, v4, 1.0                                  // 000000004BF4: D1010004 0001E504
	v_add_f32_e64 v5, v5, 1.0                                  // 000000004BFC: D1010005 0001E505
	v_add_f32_e64 v6, v6, 1.0                                  // 000000004C04: D1010006 0001E506
	v_add_f32_e64 v7, v7, 1.0                                  // 000000004C0C: D1010007 0001E507
	v_rcp_f32_e32 v4, v4                                       // 000000004C14: 7E084504
	v_rcp_f32_e32 v5, v5                                       // 000000004C18: 7E0A4505
	v_rcp_f32_e32 v6, v6                                       // 000000004C1C: 7E0C4506
	v_rcp_f32_e32 v7, v7                                       // 000000004C20: 7E0E4507
	v_mul_f32_e32 v116, v116, v4                               // 000000004C24: 0AE80974
	v_mul_f32_e32 v117, v117, v5                               // 000000004C28: 0AEA0B75
	v_mul_f32_e32 v118, v118, v6                               // 000000004C2C: 0AEC0D76
	v_mul_f32_e32 v119, v119, v7                               // 000000004C30: 0AEE0F77
	v_mul_f32_e32 v116, v116, v156                             // 000000004C34: 0AE93974
	v_mul_f32_e32 v117, v117, v157                             // 000000004C38: 0AEB3B75
	v_mul_f32_e32 v118, v118, v158                             // 000000004C3C: 0AED3D76
	v_mul_f32_e32 v119, v119, v159                             // 000000004C40: 0AEF3F77
	v_pk_mul_f32 v[4:5], v[120:121], v[120:121]                // 000000004C44: D3B14004 1802F178
	v_pk_mul_f32 v[6:7], v[122:123], v[122:123]                // 000000004C4C: D3B14006 1802F57A
	v_pk_fma_f32 v[4:5], v[4:5], s[78:79], v[8:9]              // 000000004C54: D3B04004 1C209D04
	v_pk_fma_f32 v[6:7], v[6:7], s[78:79], v[8:9]              // 000000004C5C: D3B04006 1C209D06
	v_pk_mul_f32 v[4:5], v[4:5], v[120:121]                    // 000000004C64: D3B14004 1802F104
	v_pk_mul_f32 v[6:7], v[6:7], v[122:123]                    // 000000004C6C: D3B14006 1802F506
	v_pk_mul_f32 v[4:5], v[4:5], s[60:61]                      // 000000004C74: D3B14004 18007904
	v_pk_mul_f32 v[6:7], v[6:7], s[60:61]                      // 000000004C7C: D3B14006 18007906
	v_exp_f32_e32 v4, v4                                       // 000000004C84: 7E084104
	v_exp_f32_e32 v5, v5                                       // 000000004C88: 7E0A4105
	v_exp_f32_e32 v6, v6                                       // 000000004C8C: 7E0C4106
	v_exp_f32_e32 v7, v7                                       // 000000004C90: 7E0E4107
	v_add_f32_e64 v4, v4, 1.0                                  // 000000004C94: D1010004 0001E504
	v_add_f32_e64 v5, v5, 1.0                                  // 000000004C9C: D1010005 0001E505
	v_add_f32_e64 v6, v6, 1.0                                  // 000000004CA4: D1010006 0001E506
	v_add_f32_e64 v7, v7, 1.0                                  // 000000004CAC: D1010007 0001E507
	v_rcp_f32_e32 v4, v4                                       // 000000004CB4: 7E084504
	v_rcp_f32_e32 v5, v5                                       // 000000004CB8: 7E0A4505
	v_rcp_f32_e32 v6, v6                                       // 000000004CBC: 7E0C4506
	v_rcp_f32_e32 v7, v7                                       // 000000004CC0: 7E0E4507
	v_mul_f32_e32 v120, v120, v4                               // 000000004CC4: 0AF00978
	v_mul_f32_e32 v121, v121, v5                               // 000000004CC8: 0AF20B79
	v_mul_f32_e32 v122, v122, v6                               // 000000004CCC: 0AF40D7A
	v_mul_f32_e32 v123, v123, v7                               // 000000004CD0: 0AF60F7B
	v_mul_f32_e32 v120, v120, v160                             // 000000004CD4: 0AF14178
	v_mul_f32_e32 v121, v121, v161                             // 000000004CD8: 0AF34379
	v_mul_f32_e32 v122, v122, v162                             // 000000004CDC: 0AF5457A
	v_mul_f32_e32 v123, v123, v163                             // 000000004CE0: 0AF7477B
	v_pk_mul_f32 v[4:5], v[124:125], v[124:125]                // 000000004CE4: D3B14004 1802F97C
	v_pk_mul_f32 v[6:7], v[126:127], v[126:127]                // 000000004CEC: D3B14006 1802FD7E
	v_pk_fma_f32 v[4:5], v[4:5], s[78:79], v[8:9]              // 000000004CF4: D3B04004 1C209D04
	v_pk_fma_f32 v[6:7], v[6:7], s[78:79], v[8:9]              // 000000004CFC: D3B04006 1C209D06
	v_pk_mul_f32 v[4:5], v[4:5], v[124:125]                    // 000000004D04: D3B14004 1802F904
	v_pk_mul_f32 v[6:7], v[6:7], v[126:127]                    // 000000004D0C: D3B14006 1802FD06
	v_pk_mul_f32 v[4:5], v[4:5], s[60:61]                      // 000000004D14: D3B14004 18007904
	v_pk_mul_f32 v[6:7], v[6:7], s[60:61]                      // 000000004D1C: D3B14006 18007906
	v_exp_f32_e32 v4, v4                                       // 000000004D24: 7E084104
	v_exp_f32_e32 v5, v5                                       // 000000004D28: 7E0A4105
	v_exp_f32_e32 v6, v6                                       // 000000004D2C: 7E0C4106
	v_exp_f32_e32 v7, v7                                       // 000000004D30: 7E0E4107
	v_add_f32_e64 v4, v4, 1.0                                  // 000000004D34: D1010004 0001E504
	v_add_f32_e64 v5, v5, 1.0                                  // 000000004D3C: D1010005 0001E505
	v_add_f32_e64 v6, v6, 1.0                                  // 000000004D44: D1010006 0001E506
	v_add_f32_e64 v7, v7, 1.0                                  // 000000004D4C: D1010007 0001E507
	v_rcp_f32_e32 v4, v4                                       // 000000004D54: 7E084504
	v_rcp_f32_e32 v5, v5                                       // 000000004D58: 7E0A4505
	v_rcp_f32_e32 v6, v6                                       // 000000004D5C: 7E0C4506
	v_rcp_f32_e32 v7, v7                                       // 000000004D60: 7E0E4507
	v_mul_f32_e32 v124, v124, v4                               // 000000004D64: 0AF8097C
	v_mul_f32_e32 v125, v125, v5                               // 000000004D68: 0AFA0B7D
	v_mul_f32_e32 v126, v126, v6                               // 000000004D6C: 0AFC0D7E
	v_mul_f32_e32 v127, v127, v7                               // 000000004D70: 0AFE0F7F
	v_mul_f32_e32 v124, v124, v164                             // 000000004D74: 0AF9497C
	v_mul_f32_e32 v125, v125, v165                             // 000000004D78: 0AFB4B7D
	v_mul_f32_e32 v126, v126, v166                             // 000000004D7C: 0AFD4D7E
	v_mul_f32_e32 v127, v127, v167                             // 000000004D80: 0AFF4F7F
	v_pk_mul_f32 v[4:5], v[128:129], v[128:129]                // 000000004D84: D3B14004 18030180
	v_pk_mul_f32 v[6:7], v[130:131], v[130:131]                // 000000004D8C: D3B14006 18030582
	v_pk_fma_f32 v[4:5], v[4:5], s[78:79], v[8:9]              // 000000004D94: D3B04004 1C209D04
	v_pk_fma_f32 v[6:7], v[6:7], s[78:79], v[8:9]              // 000000004D9C: D3B04006 1C209D06
	v_pk_mul_f32 v[4:5], v[4:5], v[128:129]                    // 000000004DA4: D3B14004 18030104
	v_pk_mul_f32 v[6:7], v[6:7], v[130:131]                    // 000000004DAC: D3B14006 18030506
	v_pk_mul_f32 v[4:5], v[4:5], s[60:61]                      // 000000004DB4: D3B14004 18007904
	v_pk_mul_f32 v[6:7], v[6:7], s[60:61]                      // 000000004DBC: D3B14006 18007906
	v_exp_f32_e32 v4, v4                                       // 000000004DC4: 7E084104
	v_exp_f32_e32 v5, v5                                       // 000000004DC8: 7E0A4105
	v_exp_f32_e32 v6, v6                                       // 000000004DCC: 7E0C4106
	v_exp_f32_e32 v7, v7                                       // 000000004DD0: 7E0E4107
	v_add_f32_e64 v4, v4, 1.0                                  // 000000004DD4: D1010004 0001E504
	v_add_f32_e64 v5, v5, 1.0                                  // 000000004DDC: D1010005 0001E505
	v_add_f32_e64 v6, v6, 1.0                                  // 000000004DE4: D1010006 0001E506
	v_add_f32_e64 v7, v7, 1.0                                  // 000000004DEC: D1010007 0001E507
	v_rcp_f32_e32 v4, v4                                       // 000000004DF4: 7E084504
	v_rcp_f32_e32 v5, v5                                       // 000000004DF8: 7E0A4505
	v_rcp_f32_e32 v6, v6                                       // 000000004DFC: 7E0C4506
	v_rcp_f32_e32 v7, v7                                       // 000000004E00: 7E0E4507
	v_mul_f32_e32 v128, v128, v4                               // 000000004E04: 0B000980
	v_mul_f32_e32 v129, v129, v5                               // 000000004E08: 0B020B81
	v_mul_f32_e32 v130, v130, v6                               // 000000004E0C: 0B040D82
	v_mul_f32_e32 v131, v131, v7                               // 000000004E10: 0B060F83
	v_mul_f32_e32 v128, v128, v168                             // 000000004E14: 0B015180
	v_mul_f32_e32 v129, v129, v169                             // 000000004E18: 0B035381
	v_mul_f32_e32 v130, v130, v170                             // 000000004E1C: 0B055582
	v_mul_f32_e32 v131, v131, v171                             // 000000004E20: 0B075783
	s_branch label_0A4A                                        // 000000004E24: BF820140

0000000000004e28 <label_090A>:
	v_mul_f32_e64 v4, -v92, s6                                 // 000000004E28: D1050004 20000D5C
	v_mul_f32_e64 v5, -v93, s6                                 // 000000004E30: D1050005 20000D5D
	v_mul_f32_e64 v6, -v94, s6                                 // 000000004E38: D1050006 20000D5E
	v_mul_f32_e64 v7, -v95, s6                                 // 000000004E40: D1050007 20000D5F
	v_exp_f32_e32 v4, v4                                       // 000000004E48: 7E084104
	v_exp_f32_e32 v5, v5                                       // 000000004E4C: 7E0A4105
	v_exp_f32_e32 v6, v6                                       // 000000004E50: 7E0C4106
	v_exp_f32_e32 v7, v7                                       // 000000004E54: 7E0E4107
	v_add_f32_e64 v4, v4, 1.0                                  // 000000004E58: D1010004 0001E504
	v_add_f32_e64 v5, v5, 1.0                                  // 000000004E60: D1010005 0001E505
	v_add_f32_e64 v6, v6, 1.0                                  // 000000004E68: D1010006 0001E506
	v_add_f32_e64 v7, v7, 1.0                                  // 000000004E70: D1010007 0001E507
	v_rcp_f32_e32 v4, v4                                       // 000000004E78: 7E084504
	v_rcp_f32_e32 v5, v5                                       // 000000004E7C: 7E0A4505
	v_rcp_f32_e32 v6, v6                                       // 000000004E80: 7E0C4506
	v_rcp_f32_e32 v7, v7                                       // 000000004E84: 7E0E4507
	v_mul_f32_e32 v92, v92, v4                                 // 000000004E88: 0AB8095C
	v_mul_f32_e32 v93, v93, v5                                 // 000000004E8C: 0ABA0B5D
	v_mul_f32_e32 v94, v94, v6                                 // 000000004E90: 0ABC0D5E
	v_mul_f32_e32 v95, v95, v7                                 // 000000004E94: 0ABE0F5F
	v_mul_f32_e32 v92, v92, v132                               // 000000004E98: 0AB9095C
	v_mul_f32_e32 v93, v93, v133                               // 000000004E9C: 0ABB0B5D
	v_mul_f32_e32 v94, v94, v134                               // 000000004EA0: 0ABD0D5E
	v_mul_f32_e32 v95, v95, v135                               // 000000004EA4: 0ABF0F5F
	v_mul_f32_e64 v4, -v96, s6                                 // 000000004EA8: D1050004 20000D60
	v_mul_f32_e64 v5, -v97, s6                                 // 000000004EB0: D1050005 20000D61
	v_mul_f32_e64 v6, -v98, s6                                 // 000000004EB8: D1050006 20000D62
	v_mul_f32_e64 v7, -v99, s6                                 // 000000004EC0: D1050007 20000D63
	v_exp_f32_e32 v4, v4                                       // 000000004EC8: 7E084104
	v_exp_f32_e32 v5, v5                                       // 000000004ECC: 7E0A4105
	v_exp_f32_e32 v6, v6                                       // 000000004ED0: 7E0C4106
	v_exp_f32_e32 v7, v7                                       // 000000004ED4: 7E0E4107
	v_add_f32_e64 v4, v4, 1.0                                  // 000000004ED8: D1010004 0001E504
	v_add_f32_e64 v5, v5, 1.0                                  // 000000004EE0: D1010005 0001E505
	v_add_f32_e64 v6, v6, 1.0                                  // 000000004EE8: D1010006 0001E506
	v_add_f32_e64 v7, v7, 1.0                                  // 000000004EF0: D1010007 0001E507
	v_rcp_f32_e32 v4, v4                                       // 000000004EF8: 7E084504
	v_rcp_f32_e32 v5, v5                                       // 000000004EFC: 7E0A4505
	v_rcp_f32_e32 v6, v6                                       // 000000004F00: 7E0C4506
	v_rcp_f32_e32 v7, v7                                       // 000000004F04: 7E0E4507
	v_mul_f32_e32 v96, v96, v4                                 // 000000004F08: 0AC00960
	v_mul_f32_e32 v97, v97, v5                                 // 000000004F0C: 0AC20B61
	v_mul_f32_e32 v98, v98, v6                                 // 000000004F10: 0AC40D62
	v_mul_f32_e32 v99, v99, v7                                 // 000000004F14: 0AC60F63
	v_mul_f32_e32 v96, v96, v136                               // 000000004F18: 0AC11160
	v_mul_f32_e32 v97, v97, v137                               // 000000004F1C: 0AC31361
	v_mul_f32_e32 v98, v98, v138                               // 000000004F20: 0AC51562
	v_mul_f32_e32 v99, v99, v139                               // 000000004F24: 0AC71763
	v_mul_f32_e64 v4, -v100, s6                                // 000000004F28: D1050004 20000D64
	v_mul_f32_e64 v5, -v101, s6                                // 000000004F30: D1050005 20000D65
	v_mul_f32_e64 v6, -v102, s6                                // 000000004F38: D1050006 20000D66
	v_mul_f32_e64 v7, -v103, s6                                // 000000004F40: D1050007 20000D67
	v_exp_f32_e32 v4, v4                                       // 000000004F48: 7E084104
	v_exp_f32_e32 v5, v5                                       // 000000004F4C: 7E0A4105
	v_exp_f32_e32 v6, v6                                       // 000000004F50: 7E0C4106
	v_exp_f32_e32 v7, v7                                       // 000000004F54: 7E0E4107
	v_add_f32_e64 v4, v4, 1.0                                  // 000000004F58: D1010004 0001E504
	v_add_f32_e64 v5, v5, 1.0                                  // 000000004F60: D1010005 0001E505
	v_add_f32_e64 v6, v6, 1.0                                  // 000000004F68: D1010006 0001E506
	v_add_f32_e64 v7, v7, 1.0                                  // 000000004F70: D1010007 0001E507
	v_rcp_f32_e32 v4, v4                                       // 000000004F78: 7E084504
	v_rcp_f32_e32 v5, v5                                       // 000000004F7C: 7E0A4505
	v_rcp_f32_e32 v6, v6                                       // 000000004F80: 7E0C4506
	v_rcp_f32_e32 v7, v7                                       // 000000004F84: 7E0E4507
	v_mul_f32_e32 v100, v100, v4                               // 000000004F88: 0AC80964
	v_mul_f32_e32 v101, v101, v5                               // 000000004F8C: 0ACA0B65
	v_mul_f32_e32 v102, v102, v6                               // 000000004F90: 0ACC0D66
	v_mul_f32_e32 v103, v103, v7                               // 000000004F94: 0ACE0F67
	v_mul_f32_e32 v100, v100, v140                             // 000000004F98: 0AC91964
	v_mul_f32_e32 v101, v101, v141                             // 000000004F9C: 0ACB1B65
	v_mul_f32_e32 v102, v102, v142                             // 000000004FA0: 0ACD1D66
	v_mul_f32_e32 v103, v103, v143                             // 000000004FA4: 0ACF1F67
	v_mul_f32_e64 v4, -v104, s6                                // 000000004FA8: D1050004 20000D68
	v_mul_f32_e64 v5, -v105, s6                                // 000000004FB0: D1050005 20000D69
	v_mul_f32_e64 v6, -v106, s6                                // 000000004FB8: D1050006 20000D6A
	v_mul_f32_e64 v7, -v107, s6                                // 000000004FC0: D1050007 20000D6B
	v_exp_f32_e32 v4, v4                                       // 000000004FC8: 7E084104
	v_exp_f32_e32 v5, v5                                       // 000000004FCC: 7E0A4105
	v_exp_f32_e32 v6, v6                                       // 000000004FD0: 7E0C4106
	v_exp_f32_e32 v7, v7                                       // 000000004FD4: 7E0E4107
	v_add_f32_e64 v4, v4, 1.0                                  // 000000004FD8: D1010004 0001E504
	v_add_f32_e64 v5, v5, 1.0                                  // 000000004FE0: D1010005 0001E505
	v_add_f32_e64 v6, v6, 1.0                                  // 000000004FE8: D1010006 0001E506
	v_add_f32_e64 v7, v7, 1.0                                  // 000000004FF0: D1010007 0001E507
	v_rcp_f32_e32 v4, v4                                       // 000000004FF8: 7E084504
	v_rcp_f32_e32 v5, v5                                       // 000000004FFC: 7E0A4505
	v_rcp_f32_e32 v6, v6                                       // 000000005000: 7E0C4506
	v_rcp_f32_e32 v7, v7                                       // 000000005004: 7E0E4507
	v_mul_f32_e32 v104, v104, v4                               // 000000005008: 0AD00968
	v_mul_f32_e32 v105, v105, v5                               // 00000000500C: 0AD20B69
	v_mul_f32_e32 v106, v106, v6                               // 000000005010: 0AD40D6A
	v_mul_f32_e32 v107, v107, v7                               // 000000005014: 0AD60F6B
	v_mul_f32_e32 v104, v104, v144                             // 000000005018: 0AD12168
	v_mul_f32_e32 v105, v105, v145                             // 00000000501C: 0AD32369
	v_mul_f32_e32 v106, v106, v146                             // 000000005020: 0AD5256A
	v_mul_f32_e32 v107, v107, v147                             // 000000005024: 0AD7276B
	v_mul_f32_e64 v4, -v108, s6                                // 000000005028: D1050004 20000D6C
	v_mul_f32_e64 v5, -v109, s6                                // 000000005030: D1050005 20000D6D
	v_mul_f32_e64 v6, -v110, s6                                // 000000005038: D1050006 20000D6E
	v_mul_f32_e64 v7, -v111, s6                                // 000000005040: D1050007 20000D6F
	v_exp_f32_e32 v4, v4                                       // 000000005048: 7E084104
	v_exp_f32_e32 v5, v5                                       // 00000000504C: 7E0A4105
	v_exp_f32_e32 v6, v6                                       // 000000005050: 7E0C4106
	v_exp_f32_e32 v7, v7                                       // 000000005054: 7E0E4107
	v_add_f32_e64 v4, v4, 1.0                                  // 000000005058: D1010004 0001E504
	v_add_f32_e64 v5, v5, 1.0                                  // 000000005060: D1010005 0001E505
	v_add_f32_e64 v6, v6, 1.0                                  // 000000005068: D1010006 0001E506
	v_add_f32_e64 v7, v7, 1.0                                  // 000000005070: D1010007 0001E507
	v_rcp_f32_e32 v4, v4                                       // 000000005078: 7E084504
	v_rcp_f32_e32 v5, v5                                       // 00000000507C: 7E0A4505
	v_rcp_f32_e32 v6, v6                                       // 000000005080: 7E0C4506
	v_rcp_f32_e32 v7, v7                                       // 000000005084: 7E0E4507
	v_mul_f32_e32 v108, v108, v4                               // 000000005088: 0AD8096C
	v_mul_f32_e32 v109, v109, v5                               // 00000000508C: 0ADA0B6D
	v_mul_f32_e32 v110, v110, v6                               // 000000005090: 0ADC0D6E
	v_mul_f32_e32 v111, v111, v7                               // 000000005094: 0ADE0F6F
	v_mul_f32_e32 v108, v108, v148                             // 000000005098: 0AD9296C
	v_mul_f32_e32 v109, v109, v149                             // 00000000509C: 0ADB2B6D
	v_mul_f32_e32 v110, v110, v150                             // 0000000050A0: 0ADD2D6E
	v_mul_f32_e32 v111, v111, v151                             // 0000000050A4: 0ADF2F6F
	v_mul_f32_e64 v4, -v112, s6                                // 0000000050A8: D1050004 20000D70
	v_mul_f32_e64 v5, -v113, s6                                // 0000000050B0: D1050005 20000D71
	v_mul_f32_e64 v6, -v114, s6                                // 0000000050B8: D1050006 20000D72
	v_mul_f32_e64 v7, -v115, s6                                // 0000000050C0: D1050007 20000D73
	v_exp_f32_e32 v4, v4                                       // 0000000050C8: 7E084104
	v_exp_f32_e32 v5, v5                                       // 0000000050CC: 7E0A4105
	v_exp_f32_e32 v6, v6                                       // 0000000050D0: 7E0C4106
	v_exp_f32_e32 v7, v7                                       // 0000000050D4: 7E0E4107
	v_add_f32_e64 v4, v4, 1.0                                  // 0000000050D8: D1010004 0001E504
	v_add_f32_e64 v5, v5, 1.0                                  // 0000000050E0: D1010005 0001E505
	v_add_f32_e64 v6, v6, 1.0                                  // 0000000050E8: D1010006 0001E506
	v_add_f32_e64 v7, v7, 1.0                                  // 0000000050F0: D1010007 0001E507
	v_rcp_f32_e32 v4, v4                                       // 0000000050F8: 7E084504
	v_rcp_f32_e32 v5, v5                                       // 0000000050FC: 7E0A4505
	v_rcp_f32_e32 v6, v6                                       // 000000005100: 7E0C4506
	v_rcp_f32_e32 v7, v7                                       // 000000005104: 7E0E4507
	v_mul_f32_e32 v112, v112, v4                               // 000000005108: 0AE00970
	v_mul_f32_e32 v113, v113, v5                               // 00000000510C: 0AE20B71
	v_mul_f32_e32 v114, v114, v6                               // 000000005110: 0AE40D72
	v_mul_f32_e32 v115, v115, v7                               // 000000005114: 0AE60F73
	v_mul_f32_e32 v112, v112, v152                             // 000000005118: 0AE13170
	v_mul_f32_e32 v113, v113, v153                             // 00000000511C: 0AE33371
	v_mul_f32_e32 v114, v114, v154                             // 000000005120: 0AE53572
	v_mul_f32_e32 v115, v115, v155                             // 000000005124: 0AE73773
	v_mul_f32_e64 v4, -v116, s6                                // 000000005128: D1050004 20000D74
	v_mul_f32_e64 v5, -v117, s6                                // 000000005130: D1050005 20000D75
	v_mul_f32_e64 v6, -v118, s6                                // 000000005138: D1050006 20000D76
	v_mul_f32_e64 v7, -v119, s6                                // 000000005140: D1050007 20000D77
	v_exp_f32_e32 v4, v4                                       // 000000005148: 7E084104
	v_exp_f32_e32 v5, v5                                       // 00000000514C: 7E0A4105
	v_exp_f32_e32 v6, v6                                       // 000000005150: 7E0C4106
	v_exp_f32_e32 v7, v7                                       // 000000005154: 7E0E4107
	v_add_f32_e64 v4, v4, 1.0                                  // 000000005158: D1010004 0001E504
	v_add_f32_e64 v5, v5, 1.0                                  // 000000005160: D1010005 0001E505
	v_add_f32_e64 v6, v6, 1.0                                  // 000000005168: D1010006 0001E506
	v_add_f32_e64 v7, v7, 1.0                                  // 000000005170: D1010007 0001E507
	v_rcp_f32_e32 v4, v4                                       // 000000005178: 7E084504
	v_rcp_f32_e32 v5, v5                                       // 00000000517C: 7E0A4505
	v_rcp_f32_e32 v6, v6                                       // 000000005180: 7E0C4506
	v_rcp_f32_e32 v7, v7                                       // 000000005184: 7E0E4507
	v_mul_f32_e32 v116, v116, v4                               // 000000005188: 0AE80974
	v_mul_f32_e32 v117, v117, v5                               // 00000000518C: 0AEA0B75
	v_mul_f32_e32 v118, v118, v6                               // 000000005190: 0AEC0D76
	v_mul_f32_e32 v119, v119, v7                               // 000000005194: 0AEE0F77
	v_mul_f32_e32 v116, v116, v156                             // 000000005198: 0AE93974
	v_mul_f32_e32 v117, v117, v157                             // 00000000519C: 0AEB3B75
	v_mul_f32_e32 v118, v118, v158                             // 0000000051A0: 0AED3D76
	v_mul_f32_e32 v119, v119, v159                             // 0000000051A4: 0AEF3F77
	v_mul_f32_e64 v4, -v120, s6                                // 0000000051A8: D1050004 20000D78
	v_mul_f32_e64 v5, -v121, s6                                // 0000000051B0: D1050005 20000D79
	v_mul_f32_e64 v6, -v122, s6                                // 0000000051B8: D1050006 20000D7A
	v_mul_f32_e64 v7, -v123, s6                                // 0000000051C0: D1050007 20000D7B
	v_exp_f32_e32 v4, v4                                       // 0000000051C8: 7E084104
	v_exp_f32_e32 v5, v5                                       // 0000000051CC: 7E0A4105
	v_exp_f32_e32 v6, v6                                       // 0000000051D0: 7E0C4106
	v_exp_f32_e32 v7, v7                                       // 0000000051D4: 7E0E4107
	v_add_f32_e64 v4, v4, 1.0                                  // 0000000051D8: D1010004 0001E504
	v_add_f32_e64 v5, v5, 1.0                                  // 0000000051E0: D1010005 0001E505
	v_add_f32_e64 v6, v6, 1.0                                  // 0000000051E8: D1010006 0001E506
	v_add_f32_e64 v7, v7, 1.0                                  // 0000000051F0: D1010007 0001E507
	v_rcp_f32_e32 v4, v4                                       // 0000000051F8: 7E084504
	v_rcp_f32_e32 v5, v5                                       // 0000000051FC: 7E0A4505
	v_rcp_f32_e32 v6, v6                                       // 000000005200: 7E0C4506
	v_rcp_f32_e32 v7, v7                                       // 000000005204: 7E0E4507
	v_mul_f32_e32 v120, v120, v4                               // 000000005208: 0AF00978
	v_mul_f32_e32 v121, v121, v5                               // 00000000520C: 0AF20B79
	v_mul_f32_e32 v122, v122, v6                               // 000000005210: 0AF40D7A
	v_mul_f32_e32 v123, v123, v7                               // 000000005214: 0AF60F7B
	v_mul_f32_e32 v120, v120, v160                             // 000000005218: 0AF14178
	v_mul_f32_e32 v121, v121, v161                             // 00000000521C: 0AF34379
	v_mul_f32_e32 v122, v122, v162                             // 000000005220: 0AF5457A
	v_mul_f32_e32 v123, v123, v163                             // 000000005224: 0AF7477B
	v_mul_f32_e64 v4, -v124, s6                                // 000000005228: D1050004 20000D7C
	v_mul_f32_e64 v5, -v125, s6                                // 000000005230: D1050005 20000D7D
	v_mul_f32_e64 v6, -v126, s6                                // 000000005238: D1050006 20000D7E
	v_mul_f32_e64 v7, -v127, s6                                // 000000005240: D1050007 20000D7F
	v_exp_f32_e32 v4, v4                                       // 000000005248: 7E084104
	v_exp_f32_e32 v5, v5                                       // 00000000524C: 7E0A4105
	v_exp_f32_e32 v6, v6                                       // 000000005250: 7E0C4106
	v_exp_f32_e32 v7, v7                                       // 000000005254: 7E0E4107
	v_add_f32_e64 v4, v4, 1.0                                  // 000000005258: D1010004 0001E504
	v_add_f32_e64 v5, v5, 1.0                                  // 000000005260: D1010005 0001E505
	v_add_f32_e64 v6, v6, 1.0                                  // 000000005268: D1010006 0001E506
	v_add_f32_e64 v7, v7, 1.0                                  // 000000005270: D1010007 0001E507
	v_rcp_f32_e32 v4, v4                                       // 000000005278: 7E084504
	v_rcp_f32_e32 v5, v5                                       // 00000000527C: 7E0A4505
	v_rcp_f32_e32 v6, v6                                       // 000000005280: 7E0C4506
	v_rcp_f32_e32 v7, v7                                       // 000000005284: 7E0E4507
	v_mul_f32_e32 v124, v124, v4                               // 000000005288: 0AF8097C
	v_mul_f32_e32 v125, v125, v5                               // 00000000528C: 0AFA0B7D
	v_mul_f32_e32 v126, v126, v6                               // 000000005290: 0AFC0D7E
	v_mul_f32_e32 v127, v127, v7                               // 000000005294: 0AFE0F7F
	v_mul_f32_e32 v124, v124, v164                             // 000000005298: 0AF9497C
	v_mul_f32_e32 v125, v125, v165                             // 00000000529C: 0AFB4B7D
	v_mul_f32_e32 v126, v126, v166                             // 0000000052A0: 0AFD4D7E
	v_mul_f32_e32 v127, v127, v167                             // 0000000052A4: 0AFF4F7F
	v_mul_f32_e64 v4, -v128, s6                                // 0000000052A8: D1050004 20000D80
	v_mul_f32_e64 v5, -v129, s6                                // 0000000052B0: D1050005 20000D81
	v_mul_f32_e64 v6, -v130, s6                                // 0000000052B8: D1050006 20000D82
	v_mul_f32_e64 v7, -v131, s6                                // 0000000052C0: D1050007 20000D83
	v_exp_f32_e32 v4, v4                                       // 0000000052C8: 7E084104
	v_exp_f32_e32 v5, v5                                       // 0000000052CC: 7E0A4105
	v_exp_f32_e32 v6, v6                                       // 0000000052D0: 7E0C4106
	v_exp_f32_e32 v7, v7                                       // 0000000052D4: 7E0E4107
	v_add_f32_e64 v4, v4, 1.0                                  // 0000000052D8: D1010004 0001E504
	v_add_f32_e64 v5, v5, 1.0                                  // 0000000052E0: D1010005 0001E505
	v_add_f32_e64 v6, v6, 1.0                                  // 0000000052E8: D1010006 0001E506
	v_add_f32_e64 v7, v7, 1.0                                  // 0000000052F0: D1010007 0001E507
	v_rcp_f32_e32 v4, v4                                       // 0000000052F8: 7E084504
	v_rcp_f32_e32 v5, v5                                       // 0000000052FC: 7E0A4505
	v_rcp_f32_e32 v6, v6                                       // 000000005300: 7E0C4506
	v_rcp_f32_e32 v7, v7                                       // 000000005304: 7E0E4507
	v_mul_f32_e32 v128, v128, v4                               // 000000005308: 0B000980
	v_mul_f32_e32 v129, v129, v5                               // 00000000530C: 0B020B81
	v_mul_f32_e32 v130, v130, v6                               // 000000005310: 0B040D82
	v_mul_f32_e32 v131, v131, v7                               // 000000005314: 0B060F83
	v_mul_f32_e32 v128, v128, v168                             // 000000005318: 0B015180
	v_mul_f32_e32 v129, v129, v169                             // 00000000531C: 0B035381
	v_mul_f32_e32 v130, v130, v170                             // 000000005320: 0B055582
	v_mul_f32_e32 v131, v131, v171                             // 000000005324: 0B075783

0000000000005328 <label_0A4A>:
	v_cmp_u_f32_e64 s[46:47], v92, v92                         // 000000005328: D048002E 0002B95C
	v_add3_u32 v16, v92, v19, 1                                // 000000005330: D1FF0010 0206275C
	v_cndmask_b32_e64 v4, v16, v18, s[46:47]                   // 000000005338: D1000004 00BA2510
	v_cmp_u_f32_e64 s[46:47], v93, v93                         // 000000005340: D048002E 0002BB5D
	v_add3_u32 v16, v93, v19, 1                                // 000000005348: D1FF0010 0206275D
	v_cndmask_b32_e64 v5, v16, v18, s[46:47]                   // 000000005350: D1000005 00BA2510
	v_perm_b32 v92, v5, v4, s52                                // 000000005358: D1ED005C 00D20905
	v_cmp_u_f32_e64 s[46:47], v94, v94                         // 000000005360: D048002E 0002BD5E
	v_add3_u32 v16, v94, v19, 1                                // 000000005368: D1FF0010 0206275E
	v_cndmask_b32_e64 v4, v16, v18, s[46:47]                   // 000000005370: D1000004 00BA2510
	v_cmp_u_f32_e64 s[46:47], v95, v95                         // 000000005378: D048002E 0002BF5F
	v_add3_u32 v16, v95, v19, 1                                // 000000005380: D1FF0010 0206275F
	v_cndmask_b32_e64 v5, v16, v18, s[46:47]                   // 000000005388: D1000005 00BA2510
	v_perm_b32 v93, v5, v4, s52                                // 000000005390: D1ED005D 00D20905
	v_cmp_u_f32_e64 s[46:47], v96, v96                         // 000000005398: D048002E 0002C160
	v_add3_u32 v16, v96, v19, 1                                // 0000000053A0: D1FF0010 02062760
	v_cndmask_b32_e64 v4, v16, v18, s[46:47]                   // 0000000053A8: D1000004 00BA2510
	v_cmp_u_f32_e64 s[46:47], v97, v97                         // 0000000053B0: D048002E 0002C361
	v_add3_u32 v16, v97, v19, 1                                // 0000000053B8: D1FF0010 02062761
	v_cndmask_b32_e64 v5, v16, v18, s[46:47]                   // 0000000053C0: D1000005 00BA2510
	v_perm_b32 v94, v5, v4, s52                                // 0000000053C8: D1ED005E 00D20905
	v_cmp_u_f32_e64 s[46:47], v98, v98                         // 0000000053D0: D048002E 0002C562
	v_add3_u32 v16, v98, v19, 1                                // 0000000053D8: D1FF0010 02062762
	v_cndmask_b32_e64 v4, v16, v18, s[46:47]                   // 0000000053E0: D1000004 00BA2510
	v_cmp_u_f32_e64 s[46:47], v99, v99                         // 0000000053E8: D048002E 0002C763
	v_add3_u32 v16, v99, v19, 1                                // 0000000053F0: D1FF0010 02062763
	v_cndmask_b32_e64 v5, v16, v18, s[46:47]                   // 0000000053F8: D1000005 00BA2510
	v_perm_b32 v95, v5, v4, s52                                // 000000005400: D1ED005F 00D20905
	v_cmp_u_f32_e64 s[46:47], v100, v100                       // 000000005408: D048002E 0002C964
	v_add3_u32 v16, v100, v19, 1                               // 000000005410: D1FF0010 02062764
	v_cndmask_b32_e64 v4, v16, v18, s[46:47]                   // 000000005418: D1000004 00BA2510
	v_cmp_u_f32_e64 s[46:47], v101, v101                       // 000000005420: D048002E 0002CB65
	v_add3_u32 v16, v101, v19, 1                               // 000000005428: D1FF0010 02062765
	v_cndmask_b32_e64 v5, v16, v18, s[46:47]                   // 000000005430: D1000005 00BA2510
	v_perm_b32 v96, v5, v4, s52                                // 000000005438: D1ED0060 00D20905
	v_cmp_u_f32_e64 s[46:47], v102, v102                       // 000000005440: D048002E 0002CD66
	v_add3_u32 v16, v102, v19, 1                               // 000000005448: D1FF0010 02062766
	v_cndmask_b32_e64 v4, v16, v18, s[46:47]                   // 000000005450: D1000004 00BA2510
	v_cmp_u_f32_e64 s[46:47], v103, v103                       // 000000005458: D048002E 0002CF67
	v_add3_u32 v16, v103, v19, 1                               // 000000005460: D1FF0010 02062767
	v_cndmask_b32_e64 v5, v16, v18, s[46:47]                   // 000000005468: D1000005 00BA2510
	v_perm_b32 v97, v5, v4, s52                                // 000000005470: D1ED0061 00D20905
	v_cmp_u_f32_e64 s[46:47], v104, v104                       // 000000005478: D048002E 0002D168
	v_add3_u32 v16, v104, v19, 1                               // 000000005480: D1FF0010 02062768
	v_cndmask_b32_e64 v4, v16, v18, s[46:47]                   // 000000005488: D1000004 00BA2510
	v_cmp_u_f32_e64 s[46:47], v105, v105                       // 000000005490: D048002E 0002D369
	v_add3_u32 v16, v105, v19, 1                               // 000000005498: D1FF0010 02062769
	v_cndmask_b32_e64 v5, v16, v18, s[46:47]                   // 0000000054A0: D1000005 00BA2510
	v_perm_b32 v98, v5, v4, s52                                // 0000000054A8: D1ED0062 00D20905
	v_cmp_u_f32_e64 s[46:47], v106, v106                       // 0000000054B0: D048002E 0002D56A
	v_add3_u32 v16, v106, v19, 1                               // 0000000054B8: D1FF0010 0206276A
	v_cndmask_b32_e64 v4, v16, v18, s[46:47]                   // 0000000054C0: D1000004 00BA2510
	v_cmp_u_f32_e64 s[46:47], v107, v107                       // 0000000054C8: D048002E 0002D76B
	v_add3_u32 v16, v107, v19, 1                               // 0000000054D0: D1FF0010 0206276B
	v_cndmask_b32_e64 v5, v16, v18, s[46:47]                   // 0000000054D8: D1000005 00BA2510
	v_perm_b32 v99, v5, v4, s52                                // 0000000054E0: D1ED0063 00D20905
	v_cmp_u_f32_e64 s[46:47], v108, v108                       // 0000000054E8: D048002E 0002D96C
	v_add3_u32 v16, v108, v19, 1                               // 0000000054F0: D1FF0010 0206276C
	v_cndmask_b32_e64 v4, v16, v18, s[46:47]                   // 0000000054F8: D1000004 00BA2510
	v_cmp_u_f32_e64 s[46:47], v109, v109                       // 000000005500: D048002E 0002DB6D
	v_add3_u32 v16, v109, v19, 1                               // 000000005508: D1FF0010 0206276D
	v_cndmask_b32_e64 v5, v16, v18, s[46:47]                   // 000000005510: D1000005 00BA2510
	v_perm_b32 v100, v5, v4, s52                               // 000000005518: D1ED0064 00D20905
	v_cmp_u_f32_e64 s[46:47], v110, v110                       // 000000005520: D048002E 0002DD6E
	v_add3_u32 v16, v110, v19, 1                               // 000000005528: D1FF0010 0206276E
	v_cndmask_b32_e64 v4, v16, v18, s[46:47]                   // 000000005530: D1000004 00BA2510
	v_cmp_u_f32_e64 s[46:47], v111, v111                       // 000000005538: D048002E 0002DF6F
	v_add3_u32 v16, v111, v19, 1                               // 000000005540: D1FF0010 0206276F
	v_cndmask_b32_e64 v5, v16, v18, s[46:47]                   // 000000005548: D1000005 00BA2510
	v_perm_b32 v101, v5, v4, s52                               // 000000005550: D1ED0065 00D20905
	v_cmp_u_f32_e64 s[46:47], v112, v112                       // 000000005558: D048002E 0002E170
	v_add3_u32 v16, v112, v19, 1                               // 000000005560: D1FF0010 02062770
	v_cndmask_b32_e64 v4, v16, v18, s[46:47]                   // 000000005568: D1000004 00BA2510
	v_cmp_u_f32_e64 s[46:47], v113, v113                       // 000000005570: D048002E 0002E371
	v_add3_u32 v16, v113, v19, 1                               // 000000005578: D1FF0010 02062771
	v_cndmask_b32_e64 v5, v16, v18, s[46:47]                   // 000000005580: D1000005 00BA2510
	v_perm_b32 v102, v5, v4, s52                               // 000000005588: D1ED0066 00D20905
	v_cmp_u_f32_e64 s[46:47], v114, v114                       // 000000005590: D048002E 0002E572
	v_add3_u32 v16, v114, v19, 1                               // 000000005598: D1FF0010 02062772
	v_cndmask_b32_e64 v4, v16, v18, s[46:47]                   // 0000000055A0: D1000004 00BA2510
	v_cmp_u_f32_e64 s[46:47], v115, v115                       // 0000000055A8: D048002E 0002E773
	v_add3_u32 v16, v115, v19, 1                               // 0000000055B0: D1FF0010 02062773
	v_cndmask_b32_e64 v5, v16, v18, s[46:47]                   // 0000000055B8: D1000005 00BA2510
	v_perm_b32 v103, v5, v4, s52                               // 0000000055C0: D1ED0067 00D20905
	v_cmp_u_f32_e64 s[46:47], v116, v116                       // 0000000055C8: D048002E 0002E974
	v_add3_u32 v16, v116, v19, 1                               // 0000000055D0: D1FF0010 02062774
	v_cndmask_b32_e64 v4, v16, v18, s[46:47]                   // 0000000055D8: D1000004 00BA2510
	v_cmp_u_f32_e64 s[46:47], v117, v117                       // 0000000055E0: D048002E 0002EB75
	v_add3_u32 v16, v117, v19, 1                               // 0000000055E8: D1FF0010 02062775
	v_cndmask_b32_e64 v5, v16, v18, s[46:47]                   // 0000000055F0: D1000005 00BA2510
	v_perm_b32 v104, v5, v4, s52                               // 0000000055F8: D1ED0068 00D20905
	v_cmp_u_f32_e64 s[46:47], v118, v118                       // 000000005600: D048002E 0002ED76
	v_add3_u32 v16, v118, v19, 1                               // 000000005608: D1FF0010 02062776
	v_cndmask_b32_e64 v4, v16, v18, s[46:47]                   // 000000005610: D1000004 00BA2510
	v_cmp_u_f32_e64 s[46:47], v119, v119                       // 000000005618: D048002E 0002EF77
	v_add3_u32 v16, v119, v19, 1                               // 000000005620: D1FF0010 02062777
	v_cndmask_b32_e64 v5, v16, v18, s[46:47]                   // 000000005628: D1000005 00BA2510
	v_perm_b32 v105, v5, v4, s52                               // 000000005630: D1ED0069 00D20905
	v_cmp_u_f32_e64 s[46:47], v120, v120                       // 000000005638: D048002E 0002F178
	v_add3_u32 v16, v120, v19, 1                               // 000000005640: D1FF0010 02062778
	v_cndmask_b32_e64 v4, v16, v18, s[46:47]                   // 000000005648: D1000004 00BA2510
	v_cmp_u_f32_e64 s[46:47], v121, v121                       // 000000005650: D048002E 0002F379
	v_add3_u32 v16, v121, v19, 1                               // 000000005658: D1FF0010 02062779
	v_cndmask_b32_e64 v5, v16, v18, s[46:47]                   // 000000005660: D1000005 00BA2510
	v_perm_b32 v106, v5, v4, s52                               // 000000005668: D1ED006A 00D20905
	v_cmp_u_f32_e64 s[46:47], v122, v122                       // 000000005670: D048002E 0002F57A
	v_add3_u32 v16, v122, v19, 1                               // 000000005678: D1FF0010 0206277A
	v_cndmask_b32_e64 v4, v16, v18, s[46:47]                   // 000000005680: D1000004 00BA2510
	v_cmp_u_f32_e64 s[46:47], v123, v123                       // 000000005688: D048002E 0002F77B
	v_add3_u32 v16, v123, v19, 1                               // 000000005690: D1FF0010 0206277B
	v_cndmask_b32_e64 v5, v16, v18, s[46:47]                   // 000000005698: D1000005 00BA2510
	v_perm_b32 v107, v5, v4, s52                               // 0000000056A0: D1ED006B 00D20905
	v_cmp_u_f32_e64 s[46:47], v124, v124                       // 0000000056A8: D048002E 0002F97C
	v_add3_u32 v16, v124, v19, 1                               // 0000000056B0: D1FF0010 0206277C
	v_cndmask_b32_e64 v4, v16, v18, s[46:47]                   // 0000000056B8: D1000004 00BA2510
	v_cmp_u_f32_e64 s[46:47], v125, v125                       // 0000000056C0: D048002E 0002FB7D
	v_add3_u32 v16, v125, v19, 1                               // 0000000056C8: D1FF0010 0206277D
	v_cndmask_b32_e64 v5, v16, v18, s[46:47]                   // 0000000056D0: D1000005 00BA2510
	v_perm_b32 v108, v5, v4, s52                               // 0000000056D8: D1ED006C 00D20905
	v_cmp_u_f32_e64 s[46:47], v126, v126                       // 0000000056E0: D048002E 0002FD7E
	v_add3_u32 v16, v126, v19, 1                               // 0000000056E8: D1FF0010 0206277E
	v_cndmask_b32_e64 v4, v16, v18, s[46:47]                   // 0000000056F0: D1000004 00BA2510
	v_cmp_u_f32_e64 s[46:47], v127, v127                       // 0000000056F8: D048002E 0002FF7F
	v_add3_u32 v16, v127, v19, 1                               // 000000005700: D1FF0010 0206277F
	v_cndmask_b32_e64 v5, v16, v18, s[46:47]                   // 000000005708: D1000005 00BA2510
	v_perm_b32 v109, v5, v4, s52                               // 000000005710: D1ED006D 00D20905
	v_cmp_u_f32_e64 s[46:47], v128, v128                       // 000000005718: D048002E 00030180
	v_add3_u32 v16, v128, v19, 1                               // 000000005720: D1FF0010 02062780
	v_cndmask_b32_e64 v4, v16, v18, s[46:47]                   // 000000005728: D1000004 00BA2510
	v_cmp_u_f32_e64 s[46:47], v129, v129                       // 000000005730: D048002E 00030381
	v_add3_u32 v16, v129, v19, 1                               // 000000005738: D1FF0010 02062781
	v_cndmask_b32_e64 v5, v16, v18, s[46:47]                   // 000000005740: D1000005 00BA2510
	v_perm_b32 v110, v5, v4, s52                               // 000000005748: D1ED006E 00D20905
	v_cmp_u_f32_e64 s[46:47], v130, v130                       // 000000005750: D048002E 00030582
	v_add3_u32 v16, v130, v19, 1                               // 000000005758: D1FF0010 02062782
	v_cndmask_b32_e64 v4, v16, v18, s[46:47]                   // 000000005760: D1000004 00BA2510
	v_cmp_u_f32_e64 s[46:47], v131, v131                       // 000000005768: D048002E 00030783
	v_add3_u32 v16, v131, v19, 1                               // 000000005770: D1FF0010 02062783
	v_cndmask_b32_e64 v5, v16, v18, s[46:47]                   // 000000005778: D1000005 00BA2510
	v_perm_b32 v111, v5, v4, s52                               // 000000005780: D1ED006F 00D20905
	ds_write_b64 v20, v[92:93]                                 // 000000005788: D89A0000 00005C14
	ds_write_b64 v20, v[94:95] offset:2176                     // 000000005790: D89A0880 00005E14
	ds_write_b64 v20, v[96:97] offset:4352                     // 000000005798: D89A1100 00006014
	ds_write_b64 v20, v[98:99] offset:6528                     // 0000000057A0: D89A1980 00006214
	ds_write_b64 v20, v[100:101] offset:8704                   // 0000000057A8: D89A2200 00006414
	ds_write_b64 v20, v[102:103] offset:10880                  // 0000000057B0: D89A2A80 00006614
	ds_write_b64 v20, v[104:105] offset:13056                  // 0000000057B8: D89A3300 00006814
	ds_write_b64 v20, v[106:107] offset:15232                  // 0000000057C0: D89A3B80 00006A14
	ds_write_b64 v20, v[108:109] offset:17408                  // 0000000057C8: D89A4400 00006C14
	ds_write_b64 v20, v[110:111] offset:19584                  // 0000000057D0: D89A4C80 00006E14
	v_lshrrev_b32_e32 v4, 5, v0                                // 0000000057D8: 20080085
	v_xor_b32_e32 v5, 1, v4                                    // 0000000057DC: 2A0A0881
	s_mul_i32 s60, s65, 2                                      // 0000000057E0: 923C8241
	s_cmp_eq_u32 s88, 0                                        // 0000000057E4: BF068058
	s_cselect_b32 s61, 1, 4                                    // 0000000057E8: 853D8481
	s_mul_i32 s60, s61, s60                                    // 0000000057EC: 923C3C3D
	v_readlane_b32 s82, v3, 0                                  // 0000000057F0: D2890052 00010103
	s_lshr_b32 s61, s82, 24                                    // 0000000057F8: 8F3D9852
	s_and_b32 s82, s82, 0xffffff                               // 0000000057FC: 8652FF52 00FFFFFF
	s_mul_i32 s82, s82, s71                                    // 000000005804: 92524752
	s_mul_i32 s61, s60, s61                                    // 000000005808: 923D3D3C
	s_add_u32 s82, s82, s61                                    // 00000000580C: 80523D52
	v_mul_lo_u32 v6, v5, s82                                   // 000000005810: D2850006 0000A505
	v_readlane_b32 s82, v3, 1                                  // 000000005818: D2890052 00010303
	s_lshr_b32 s61, s82, 24                                    // 000000005820: 8F3D9852
	s_and_b32 s82, s82, 0xffffff                               // 000000005824: 8652FF52 00FFFFFF
	s_mul_i32 s82, s82, s71                                    // 00000000582C: 92524752
	s_mul_i32 s61, s60, s61                                    // 000000005830: 923D3D3C
	s_add_u32 s82, s82, s61                                    // 000000005834: 80523D52
	v_mul_lo_u32 v7, v4, s82                                   // 000000005838: D2850007 0000A504
	v_add_u32_e32 v68, v6, v7                                  // 000000005840: 68880F06
	v_readlane_b32 s82, v3, 2                                  // 000000005844: D2890052 00010503
	s_lshr_b32 s61, s82, 24                                    // 00000000584C: 8F3D9852
	s_and_b32 s82, s82, 0xffffff                               // 000000005850: 8652FF52 00FFFFFF
	s_mul_i32 s82, s82, s71                                    // 000000005858: 92524752
	s_mul_i32 s61, s60, s61                                    // 00000000585C: 923D3D3C
	s_add_u32 s82, s82, s61                                    // 000000005860: 80523D52
	v_mul_lo_u32 v6, v5, s82                                   // 000000005864: D2850006 0000A505
	v_readlane_b32 s82, v3, 3                                  // 00000000586C: D2890052 00010703
	s_lshr_b32 s61, s82, 24                                    // 000000005874: 8F3D9852
	s_and_b32 s82, s82, 0xffffff                               // 000000005878: 8652FF52 00FFFFFF
	s_mul_i32 s82, s82, s71                                    // 000000005880: 92524752
	s_mul_i32 s61, s60, s61                                    // 000000005884: 923D3D3C
	s_add_u32 s82, s82, s61                                    // 000000005888: 80523D52
	v_mul_lo_u32 v7, v4, s82                                   // 00000000588C: D2850007 0000A504
	v_add_u32_e32 v69, v6, v7                                  // 000000005894: 688A0F06
	v_readlane_b32 s82, v3, 4                                  // 000000005898: D2890052 00010903
	s_lshr_b32 s61, s82, 24                                    // 0000000058A0: 8F3D9852
	s_and_b32 s82, s82, 0xffffff                               // 0000000058A4: 8652FF52 00FFFFFF
	s_mul_i32 s82, s82, s71                                    // 0000000058AC: 92524752
	s_mul_i32 s61, s60, s61                                    // 0000000058B0: 923D3D3C
	s_add_u32 s82, s82, s61                                    // 0000000058B4: 80523D52
	v_mul_lo_u32 v6, v5, s82                                   // 0000000058B8: D2850006 0000A505
	v_readlane_b32 s82, v3, 5                                  // 0000000058C0: D2890052 00010B03
	s_lshr_b32 s61, s82, 24                                    // 0000000058C8: 8F3D9852
	s_and_b32 s82, s82, 0xffffff                               // 0000000058CC: 8652FF52 00FFFFFF
	s_mul_i32 s82, s82, s71                                    // 0000000058D4: 92524752
	s_mul_i32 s61, s60, s61                                    // 0000000058D8: 923D3D3C
	s_add_u32 s82, s82, s61                                    // 0000000058DC: 80523D52
	v_mul_lo_u32 v7, v4, s82                                   // 0000000058E0: D2850007 0000A504
	v_add_u32_e32 v70, v6, v7                                  // 0000000058E8: 688C0F06
	v_readlane_b32 s82, v3, 6                                  // 0000000058EC: D2890052 00010D03
	s_lshr_b32 s61, s82, 24                                    // 0000000058F4: 8F3D9852
	s_and_b32 s82, s82, 0xffffff                               // 0000000058F8: 8652FF52 00FFFFFF
	s_mul_i32 s82, s82, s71                                    // 000000005900: 92524752
	s_mul_i32 s61, s60, s61                                    // 000000005904: 923D3D3C
	s_add_u32 s82, s82, s61                                    // 000000005908: 80523D52
	v_mul_lo_u32 v6, v5, s82                                   // 00000000590C: D2850006 0000A505
	v_readlane_b32 s82, v3, 7                                  // 000000005914: D2890052 00010F03
	s_lshr_b32 s61, s82, 24                                    // 00000000591C: 8F3D9852
	s_and_b32 s82, s82, 0xffffff                               // 000000005920: 8652FF52 00FFFFFF
	s_mul_i32 s82, s82, s71                                    // 000000005928: 92524752
	s_mul_i32 s61, s60, s61                                    // 00000000592C: 923D3D3C
	s_add_u32 s82, s82, s61                                    // 000000005930: 80523D52
	v_mul_lo_u32 v7, v4, s82                                   // 000000005934: D2850007 0000A504
	v_add_u32_e32 v71, v6, v7                                  // 00000000593C: 688E0F06
	v_readlane_b32 s82, v3, 8                                  // 000000005940: D2890052 00011103
	s_lshr_b32 s61, s82, 24                                    // 000000005948: 8F3D9852
	s_and_b32 s82, s82, 0xffffff                               // 00000000594C: 8652FF52 00FFFFFF
	s_mul_i32 s82, s82, s71                                    // 000000005954: 92524752
	s_mul_i32 s61, s60, s61                                    // 000000005958: 923D3D3C
	s_add_u32 s82, s82, s61                                    // 00000000595C: 80523D52
	v_mul_lo_u32 v6, v5, s82                                   // 000000005960: D2850006 0000A505
	v_readlane_b32 s82, v3, 9                                  // 000000005968: D2890052 00011303
	s_lshr_b32 s61, s82, 24                                    // 000000005970: 8F3D9852
	s_and_b32 s82, s82, 0xffffff                               // 000000005974: 8652FF52 00FFFFFF
	s_mul_i32 s82, s82, s71                                    // 00000000597C: 92524752
	s_mul_i32 s61, s60, s61                                    // 000000005980: 923D3D3C
	s_add_u32 s82, s82, s61                                    // 000000005984: 80523D52
	v_mul_lo_u32 v7, v4, s82                                   // 000000005988: D2850007 0000A504
	v_add_u32_e32 v72, v6, v7                                  // 000000005990: 68900F06
	v_readlane_b32 s82, v3, 10                                 // 000000005994: D2890052 00011503
	s_lshr_b32 s61, s82, 24                                    // 00000000599C: 8F3D9852
	s_and_b32 s82, s82, 0xffffff                               // 0000000059A0: 8652FF52 00FFFFFF
	s_mul_i32 s82, s82, s71                                    // 0000000059A8: 92524752
	s_mul_i32 s61, s60, s61                                    // 0000000059AC: 923D3D3C
	s_add_u32 s82, s82, s61                                    // 0000000059B0: 80523D52
	v_mul_lo_u32 v6, v5, s82                                   // 0000000059B4: D2850006 0000A505
	v_readlane_b32 s82, v3, 11                                 // 0000000059BC: D2890052 00011703
	s_lshr_b32 s61, s82, 24                                    // 0000000059C4: 8F3D9852
	s_and_b32 s82, s82, 0xffffff                               // 0000000059C8: 8652FF52 00FFFFFF
	s_mul_i32 s82, s82, s71                                    // 0000000059D0: 92524752
	s_mul_i32 s61, s60, s61                                    // 0000000059D4: 923D3D3C
	s_add_u32 s82, s82, s61                                    // 0000000059D8: 80523D52
	v_mul_lo_u32 v7, v4, s82                                   // 0000000059DC: D2850007 0000A504
	v_add_u32_e32 v73, v6, v7                                  // 0000000059E4: 68920F06
	v_readlane_b32 s82, v3, 12                                 // 0000000059E8: D2890052 00011903
	s_lshr_b32 s61, s82, 24                                    // 0000000059F0: 8F3D9852
	s_and_b32 s82, s82, 0xffffff                               // 0000000059F4: 8652FF52 00FFFFFF
	s_mul_i32 s82, s82, s71                                    // 0000000059FC: 92524752
	s_mul_i32 s61, s60, s61                                    // 000000005A00: 923D3D3C
	s_add_u32 s82, s82, s61                                    // 000000005A04: 80523D52
	v_mul_lo_u32 v6, v5, s82                                   // 000000005A08: D2850006 0000A505
	v_readlane_b32 s82, v3, 13                                 // 000000005A10: D2890052 00011B03
	s_lshr_b32 s61, s82, 24                                    // 000000005A18: 8F3D9852
	s_and_b32 s82, s82, 0xffffff                               // 000000005A1C: 8652FF52 00FFFFFF
	s_mul_i32 s82, s82, s71                                    // 000000005A24: 92524752
	s_mul_i32 s61, s60, s61                                    // 000000005A28: 923D3D3C
	s_add_u32 s82, s82, s61                                    // 000000005A2C: 80523D52
	v_mul_lo_u32 v7, v4, s82                                   // 000000005A30: D2850007 0000A504
	v_add_u32_e32 v74, v6, v7                                  // 000000005A38: 68940F06
	v_readlane_b32 s82, v3, 14                                 // 000000005A3C: D2890052 00011D03
	s_lshr_b32 s61, s82, 24                                    // 000000005A44: 8F3D9852
	s_and_b32 s82, s82, 0xffffff                               // 000000005A48: 8652FF52 00FFFFFF
	s_mul_i32 s82, s82, s71                                    // 000000005A50: 92524752
	s_mul_i32 s61, s60, s61                                    // 000000005A54: 923D3D3C
	s_add_u32 s82, s82, s61                                    // 000000005A58: 80523D52
	v_mul_lo_u32 v6, v5, s82                                   // 000000005A5C: D2850006 0000A505
	v_readlane_b32 s82, v3, 15                                 // 000000005A64: D2890052 00011F03
	s_lshr_b32 s61, s82, 24                                    // 000000005A6C: 8F3D9852
	s_and_b32 s82, s82, 0xffffff                               // 000000005A70: 8652FF52 00FFFFFF
	s_mul_i32 s82, s82, s71                                    // 000000005A78: 92524752
	s_mul_i32 s61, s60, s61                                    // 000000005A7C: 923D3D3C
	s_add_u32 s82, s82, s61                                    // 000000005A80: 80523D52
	v_mul_lo_u32 v7, v4, s82                                   // 000000005A84: D2850007 0000A504
	v_add_u32_e32 v75, v6, v7                                  // 000000005A8C: 68960F06
	v_readlane_b32 s82, v3, 16                                 // 000000005A90: D2890052 00012103
	s_lshr_b32 s61, s82, 24                                    // 000000005A98: 8F3D9852
	s_and_b32 s82, s82, 0xffffff                               // 000000005A9C: 8652FF52 00FFFFFF
	s_mul_i32 s82, s82, s71                                    // 000000005AA4: 92524752
	s_mul_i32 s61, s60, s61                                    // 000000005AA8: 923D3D3C
	s_add_u32 s82, s82, s61                                    // 000000005AAC: 80523D52
	v_mul_lo_u32 v6, v5, s82                                   // 000000005AB0: D2850006 0000A505
	v_readlane_b32 s82, v3, 17                                 // 000000005AB8: D2890052 00012303
	s_lshr_b32 s61, s82, 24                                    // 000000005AC0: 8F3D9852
	s_and_b32 s82, s82, 0xffffff                               // 000000005AC4: 8652FF52 00FFFFFF
	s_mul_i32 s82, s82, s71                                    // 000000005ACC: 92524752
	s_mul_i32 s61, s60, s61                                    // 000000005AD0: 923D3D3C
	s_add_u32 s82, s82, s61                                    // 000000005AD4: 80523D52
	v_mul_lo_u32 v7, v4, s82                                   // 000000005AD8: D2850007 0000A504
	v_add_u32_e32 v76, v6, v7                                  // 000000005AE0: 68980F06
	v_readlane_b32 s82, v3, 18                                 // 000000005AE4: D2890052 00012503
	s_lshr_b32 s61, s82, 24                                    // 000000005AEC: 8F3D9852
	s_and_b32 s82, s82, 0xffffff                               // 000000005AF0: 8652FF52 00FFFFFF
	s_mul_i32 s82, s82, s71                                    // 000000005AF8: 92524752
	s_mul_i32 s61, s60, s61                                    // 000000005AFC: 923D3D3C
	s_add_u32 s82, s82, s61                                    // 000000005B00: 80523D52
	v_mul_lo_u32 v6, v5, s82                                   // 000000005B04: D2850006 0000A505
	v_readlane_b32 s82, v3, 19                                 // 000000005B0C: D2890052 00012703
	s_lshr_b32 s61, s82, 24                                    // 000000005B14: 8F3D9852
	s_and_b32 s82, s82, 0xffffff                               // 000000005B18: 8652FF52 00FFFFFF
	s_mul_i32 s82, s82, s71                                    // 000000005B20: 92524752
	s_mul_i32 s61, s60, s61                                    // 000000005B24: 923D3D3C
	s_add_u32 s82, s82, s61                                    // 000000005B28: 80523D52
	v_mul_lo_u32 v7, v4, s82                                   // 000000005B2C: D2850007 0000A504
	v_add_u32_e32 v77, v6, v7                                  // 000000005B34: 689A0F06
	v_readlane_b32 s82, v3, 20                                 // 000000005B38: D2890052 00012903
	s_lshr_b32 s61, s82, 24                                    // 000000005B40: 8F3D9852
	s_and_b32 s82, s82, 0xffffff                               // 000000005B44: 8652FF52 00FFFFFF
	s_mul_i32 s82, s82, s71                                    // 000000005B4C: 92524752
	s_mul_i32 s61, s60, s61                                    // 000000005B50: 923D3D3C
	s_add_u32 s82, s82, s61                                    // 000000005B54: 80523D52
	v_mul_lo_u32 v6, v5, s82                                   // 000000005B58: D2850006 0000A505
	v_readlane_b32 s82, v3, 21                                 // 000000005B60: D2890052 00012B03
	s_lshr_b32 s61, s82, 24                                    // 000000005B68: 8F3D9852
	s_and_b32 s82, s82, 0xffffff                               // 000000005B6C: 8652FF52 00FFFFFF
	s_mul_i32 s82, s82, s71                                    // 000000005B74: 92524752
	s_mul_i32 s61, s60, s61                                    // 000000005B78: 923D3D3C
	s_add_u32 s82, s82, s61                                    // 000000005B7C: 80523D52
	v_mul_lo_u32 v7, v4, s82                                   // 000000005B80: D2850007 0000A504
	v_add_u32_e32 v78, v6, v7                                  // 000000005B88: 689C0F06
	v_readlane_b32 s82, v3, 22                                 // 000000005B8C: D2890052 00012D03
	s_lshr_b32 s61, s82, 24                                    // 000000005B94: 8F3D9852
	s_and_b32 s82, s82, 0xffffff                               // 000000005B98: 8652FF52 00FFFFFF
	s_mul_i32 s82, s82, s71                                    // 000000005BA0: 92524752
	s_mul_i32 s61, s60, s61                                    // 000000005BA4: 923D3D3C
	s_add_u32 s82, s82, s61                                    // 000000005BA8: 80523D52
	v_mul_lo_u32 v6, v5, s82                                   // 000000005BAC: D2850006 0000A505
	v_readlane_b32 s82, v3, 23                                 // 000000005BB4: D2890052 00012F03
	s_lshr_b32 s61, s82, 24                                    // 000000005BBC: 8F3D9852
	s_and_b32 s82, s82, 0xffffff                               // 000000005BC0: 8652FF52 00FFFFFF
	s_mul_i32 s82, s82, s71                                    // 000000005BC8: 92524752
	s_mul_i32 s61, s60, s61                                    // 000000005BCC: 923D3D3C
	s_add_u32 s82, s82, s61                                    // 000000005BD0: 80523D52
	v_mul_lo_u32 v7, v4, s82                                   // 000000005BD4: D2850007 0000A504
	v_add_u32_e32 v79, v6, v7                                  // 000000005BDC: 689E0F06
	v_readlane_b32 s82, v3, 24                                 // 000000005BE0: D2890052 00013103
	s_lshr_b32 s61, s82, 24                                    // 000000005BE8: 8F3D9852
	s_and_b32 s82, s82, 0xffffff                               // 000000005BEC: 8652FF52 00FFFFFF
	s_mul_i32 s82, s82, s71                                    // 000000005BF4: 92524752
	s_mul_i32 s61, s60, s61                                    // 000000005BF8: 923D3D3C
	s_add_u32 s82, s82, s61                                    // 000000005BFC: 80523D52
	v_mul_lo_u32 v6, v5, s82                                   // 000000005C00: D2850006 0000A505
	v_readlane_b32 s82, v3, 25                                 // 000000005C08: D2890052 00013303
	s_lshr_b32 s61, s82, 24                                    // 000000005C10: 8F3D9852
	s_and_b32 s82, s82, 0xffffff                               // 000000005C14: 8652FF52 00FFFFFF
	s_mul_i32 s82, s82, s71                                    // 000000005C1C: 92524752
	s_mul_i32 s61, s60, s61                                    // 000000005C20: 923D3D3C
	s_add_u32 s82, s82, s61                                    // 000000005C24: 80523D52
	v_mul_lo_u32 v7, v4, s82                                   // 000000005C28: D2850007 0000A504
	v_add_u32_e32 v80, v6, v7                                  // 000000005C30: 68A00F06
	v_readlane_b32 s82, v3, 26                                 // 000000005C34: D2890052 00013503
	s_lshr_b32 s61, s82, 24                                    // 000000005C3C: 8F3D9852
	s_and_b32 s82, s82, 0xffffff                               // 000000005C40: 8652FF52 00FFFFFF
	s_mul_i32 s82, s82, s71                                    // 000000005C48: 92524752
	s_mul_i32 s61, s60, s61                                    // 000000005C4C: 923D3D3C
	s_add_u32 s82, s82, s61                                    // 000000005C50: 80523D52
	v_mul_lo_u32 v6, v5, s82                                   // 000000005C54: D2850006 0000A505
	v_readlane_b32 s82, v3, 27                                 // 000000005C5C: D2890052 00013703
	s_lshr_b32 s61, s82, 24                                    // 000000005C64: 8F3D9852
	s_and_b32 s82, s82, 0xffffff                               // 000000005C68: 8652FF52 00FFFFFF
	s_mul_i32 s82, s82, s71                                    // 000000005C70: 92524752
	s_mul_i32 s61, s60, s61                                    // 000000005C74: 923D3D3C
	s_add_u32 s82, s82, s61                                    // 000000005C78: 80523D52
	v_mul_lo_u32 v7, v4, s82                                   // 000000005C7C: D2850007 0000A504
	v_add_u32_e32 v81, v6, v7                                  // 000000005C84: 68A20F06
	v_readlane_b32 s82, v3, 28                                 // 000000005C88: D2890052 00013903
	s_lshr_b32 s61, s82, 24                                    // 000000005C90: 8F3D9852
	s_and_b32 s82, s82, 0xffffff                               // 000000005C94: 8652FF52 00FFFFFF
	s_mul_i32 s82, s82, s71                                    // 000000005C9C: 92524752
	s_mul_i32 s61, s60, s61                                    // 000000005CA0: 923D3D3C
	s_add_u32 s82, s82, s61                                    // 000000005CA4: 80523D52
	v_mul_lo_u32 v6, v5, s82                                   // 000000005CA8: D2850006 0000A505
	v_readlane_b32 s82, v3, 29                                 // 000000005CB0: D2890052 00013B03
	s_lshr_b32 s61, s82, 24                                    // 000000005CB8: 8F3D9852
	s_and_b32 s82, s82, 0xffffff                               // 000000005CBC: 8652FF52 00FFFFFF
	s_mul_i32 s82, s82, s71                                    // 000000005CC4: 92524752
	s_mul_i32 s61, s60, s61                                    // 000000005CC8: 923D3D3C
	s_add_u32 s82, s82, s61                                    // 000000005CCC: 80523D52
	v_mul_lo_u32 v7, v4, s82                                   // 000000005CD0: D2850007 0000A504
	v_add_u32_e32 v82, v6, v7                                  // 000000005CD8: 68A40F06
	v_readlane_b32 s82, v3, 30                                 // 000000005CDC: D2890052 00013D03
	s_lshr_b32 s61, s82, 24                                    // 000000005CE4: 8F3D9852
	s_and_b32 s82, s82, 0xffffff                               // 000000005CE8: 8652FF52 00FFFFFF
	s_mul_i32 s82, s82, s71                                    // 000000005CF0: 92524752
	s_mul_i32 s61, s60, s61                                    // 000000005CF4: 923D3D3C
	s_add_u32 s82, s82, s61                                    // 000000005CF8: 80523D52
	v_mul_lo_u32 v6, v5, s82                                   // 000000005CFC: D2850006 0000A505
	v_readlane_b32 s82, v3, 31                                 // 000000005D04: D2890052 00013F03
	s_lshr_b32 s61, s82, 24                                    // 000000005D0C: 8F3D9852
	s_and_b32 s82, s82, 0xffffff                               // 000000005D10: 8652FF52 00FFFFFF
	s_mul_i32 s82, s82, s71                                    // 000000005D18: 92524752
	s_mul_i32 s61, s60, s61                                    // 000000005D1C: 923D3D3C
	s_add_u32 s82, s82, s61                                    // 000000005D20: 80523D52
	v_mul_lo_u32 v7, v4, s82                                   // 000000005D24: D2850007 0000A504
	v_add_u32_e32 v83, v6, v7                                  // 000000005D2C: 68A60F06
	v_readlane_b32 s82, v3, 32                                 // 000000005D30: D2890052 00014103
	s_lshr_b32 s61, s82, 24                                    // 000000005D38: 8F3D9852
	s_and_b32 s82, s82, 0xffffff                               // 000000005D3C: 8652FF52 00FFFFFF
	s_mul_i32 s82, s82, s71                                    // 000000005D44: 92524752
	s_mul_i32 s61, s60, s61                                    // 000000005D48: 923D3D3C
	s_add_u32 s82, s82, s61                                    // 000000005D4C: 80523D52
	v_mul_lo_u32 v6, v5, s82                                   // 000000005D50: D2850006 0000A505
	v_readlane_b32 s82, v3, 33                                 // 000000005D58: D2890052 00014303
	s_lshr_b32 s61, s82, 24                                    // 000000005D60: 8F3D9852
	s_and_b32 s82, s82, 0xffffff                               // 000000005D64: 8652FF52 00FFFFFF
	s_mul_i32 s82, s82, s71                                    // 000000005D6C: 92524752
	s_mul_i32 s61, s60, s61                                    // 000000005D70: 923D3D3C
	s_add_u32 s82, s82, s61                                    // 000000005D74: 80523D52
	v_mul_lo_u32 v7, v4, s82                                   // 000000005D78: D2850007 0000A504
	v_add_u32_e32 v84, v6, v7                                  // 000000005D80: 68A80F06
	v_readlane_b32 s82, v3, 34                                 // 000000005D84: D2890052 00014503
	s_lshr_b32 s61, s82, 24                                    // 000000005D8C: 8F3D9852
	s_and_b32 s82, s82, 0xffffff                               // 000000005D90: 8652FF52 00FFFFFF
	s_mul_i32 s82, s82, s71                                    // 000000005D98: 92524752
	s_mul_i32 s61, s60, s61                                    // 000000005D9C: 923D3D3C
	s_add_u32 s82, s82, s61                                    // 000000005DA0: 80523D52
	v_mul_lo_u32 v6, v5, s82                                   // 000000005DA4: D2850006 0000A505
	v_readlane_b32 s82, v3, 35                                 // 000000005DAC: D2890052 00014703
	s_lshr_b32 s61, s82, 24                                    // 000000005DB4: 8F3D9852
	s_and_b32 s82, s82, 0xffffff                               // 000000005DB8: 8652FF52 00FFFFFF
	s_mul_i32 s82, s82, s71                                    // 000000005DC0: 92524752
	s_mul_i32 s61, s60, s61                                    // 000000005DC4: 923D3D3C
	s_add_u32 s82, s82, s61                                    // 000000005DC8: 80523D52
	v_mul_lo_u32 v7, v4, s82                                   // 000000005DCC: D2850007 0000A504
	v_add_u32_e32 v85, v6, v7                                  // 000000005DD4: 68AA0F06
	v_readlane_b32 s82, v3, 36                                 // 000000005DD8: D2890052 00014903
	s_lshr_b32 s61, s82, 24                                    // 000000005DE0: 8F3D9852
	s_and_b32 s82, s82, 0xffffff                               // 000000005DE4: 8652FF52 00FFFFFF
	s_mul_i32 s82, s82, s71                                    // 000000005DEC: 92524752
	s_mul_i32 s61, s60, s61                                    // 000000005DF0: 923D3D3C
	s_add_u32 s82, s82, s61                                    // 000000005DF4: 80523D52
	v_mul_lo_u32 v6, v5, s82                                   // 000000005DF8: D2850006 0000A505
	v_readlane_b32 s82, v3, 37                                 // 000000005E00: D2890052 00014B03
	s_lshr_b32 s61, s82, 24                                    // 000000005E08: 8F3D9852
	s_and_b32 s82, s82, 0xffffff                               // 000000005E0C: 8652FF52 00FFFFFF
	s_mul_i32 s82, s82, s71                                    // 000000005E14: 92524752
	s_mul_i32 s61, s60, s61                                    // 000000005E18: 923D3D3C
	s_add_u32 s82, s82, s61                                    // 000000005E1C: 80523D52
	v_mul_lo_u32 v7, v4, s82                                   // 000000005E20: D2850007 0000A504
	v_add_u32_e32 v86, v6, v7                                  // 000000005E28: 68AC0F06
	v_readlane_b32 s82, v3, 38                                 // 000000005E2C: D2890052 00014D03
	s_lshr_b32 s61, s82, 24                                    // 000000005E34: 8F3D9852
	s_and_b32 s82, s82, 0xffffff                               // 000000005E38: 8652FF52 00FFFFFF
	s_mul_i32 s82, s82, s71                                    // 000000005E40: 92524752
	s_mul_i32 s61, s60, s61                                    // 000000005E44: 923D3D3C
	s_add_u32 s82, s82, s61                                    // 000000005E48: 80523D52
	v_mul_lo_u32 v6, v5, s82                                   // 000000005E4C: D2850006 0000A505
	v_readlane_b32 s82, v3, 39                                 // 000000005E54: D2890052 00014F03
	s_lshr_b32 s61, s82, 24                                    // 000000005E5C: 8F3D9852
	s_and_b32 s82, s82, 0xffffff                               // 000000005E60: 8652FF52 00FFFFFF
	s_mul_i32 s82, s82, s71                                    // 000000005E68: 92524752
	s_mul_i32 s61, s60, s61                                    // 000000005E6C: 923D3D3C
	s_add_u32 s82, s82, s61                                    // 000000005E70: 80523D52
	v_mul_lo_u32 v7, v4, s82                                   // 000000005E74: D2850007 0000A504
	v_add_u32_e32 v87, v6, v7                                  // 000000005E7C: 68AE0F06
	v_and_b32_e32 v4, 31, v0                                   // 000000005E80: 2608009F
	v_lshrrev_b32_e32 v4, 1, v4                                // 000000005E84: 20080881
	s_cmp_eq_u32 s88, 0                                        // 000000005E88: BF068058
	s_cselect_b32 s61, 2, 4                                    // 000000005E8C: 853D8482
	v_mul_lo_u32 v4, v4, s61                                   // 000000005E90: D2850004 00007B04
	v_and_b32_e64 v5, v0, 1                                    // 000000005E98: D1130005 00010300
	v_add_u32_e32 v4, v4, v5                                   // 000000005EA0: 68080B04
	v_lshlrev_b32_e32 v4, 2, v4                                // 000000005EA4: 24080882
	v_add_u32_e32 v68, v68, v4                                 // 000000005EA8: 68880944
	v_add_u32_e32 v69, v69, v4                                 // 000000005EAC: 688A0945
	v_add_u32_e32 v70, v70, v4                                 // 000000005EB0: 688C0946
	v_add_u32_e32 v71, v71, v4                                 // 000000005EB4: 688E0947
	v_add_u32_e32 v72, v72, v4                                 // 000000005EB8: 68900948
	v_add_u32_e32 v73, v73, v4                                 // 000000005EBC: 68920949
	v_add_u32_e32 v74, v74, v4                                 // 000000005EC0: 6894094A
	v_add_u32_e32 v75, v75, v4                                 // 000000005EC4: 6896094B
	v_add_u32_e32 v76, v76, v4                                 // 000000005EC8: 6898094C
	v_add_u32_e32 v77, v77, v4                                 // 000000005ECC: 689A094D
	v_add_u32_e32 v78, v78, v4                                 // 000000005ED0: 689C094E
	v_add_u32_e32 v79, v79, v4                                 // 000000005ED4: 689E094F
	v_add_u32_e32 v80, v80, v4                                 // 000000005ED8: 68A00950
	v_add_u32_e32 v81, v81, v4                                 // 000000005EDC: 68A20951
	v_add_u32_e32 v82, v82, v4                                 // 000000005EE0: 68A40952
	v_add_u32_e32 v83, v83, v4                                 // 000000005EE4: 68A60953
	v_add_u32_e32 v84, v84, v4                                 // 000000005EE8: 68A80954
	v_add_u32_e32 v85, v85, v4                                 // 000000005EEC: 68AA0955
	v_add_u32_e32 v86, v86, v4                                 // 000000005EF0: 68AC0956
	v_add_u32_e32 v87, v87, v4                                 // 000000005EF4: 68AE0957
	s_waitcnt lgkmcnt(0)                                       // 000000005EF8: BF8CC07F
	s_barrier                                                  // 000000005EFC: BF8A0000
	ds_read_b32 v92, v21                                       // 000000005F00: D86C0000 5C000015
	ds_read_b32 v93, v21 offset:64                             // 000000005F08: D86C0040 5D000015
	ds_read_b32 v94, v21 offset:2176                           // 000000005F10: D86C0880 5E000015
	ds_read_b32 v95, v21 offset:2240                           // 000000005F18: D86C08C0 5F000015
	ds_read_b32 v96, v21 offset:4352                           // 000000005F20: D86C1100 60000015
	ds_read_b32 v97, v21 offset:4416                           // 000000005F28: D86C1140 61000015
	ds_read_b32 v98, v21 offset:6528                           // 000000005F30: D86C1980 62000015
	ds_read_b32 v99, v21 offset:6592                           // 000000005F38: D86C19C0 63000015
	ds_read_b32 v100, v21 offset:8704                          // 000000005F40: D86C2200 64000015
	ds_read_b32 v101, v21 offset:8768                          // 000000005F48: D86C2240 65000015
	ds_read_b32 v102, v21 offset:10880                         // 000000005F50: D86C2A80 66000015
	ds_read_b32 v103, v21 offset:10944                         // 000000005F58: D86C2AC0 67000015
	ds_read_b32 v104, v21 offset:13056                         // 000000005F60: D86C3300 68000015
	ds_read_b32 v105, v21 offset:13120                         // 000000005F68: D86C3340 69000015
	ds_read_b32 v106, v21 offset:15232                         // 000000005F70: D86C3B80 6A000015
	ds_read_b32 v107, v21 offset:15296                         // 000000005F78: D86C3BC0 6B000015
	ds_read_b32 v108, v21 offset:17408                         // 000000005F80: D86C4400 6C000015
	ds_read_b32 v109, v21 offset:17472                         // 000000005F88: D86C4440 6D000015
	ds_read_b32 v110, v21 offset:19584                         // 000000005F90: D86C4C80 6E000015
	ds_read_b32 v111, v21 offset:19648                         // 000000005F98: D86C4CC0 6F000015
	s_waitcnt lgkmcnt(0)                                       // 000000005FA0: BF8CC07F
	s_mov_b32 s36, -1                                          // 000000005FA4: BEA400C1
	s_mov_b32 s37, -1                                          // 000000005FA8: BEA500C1
	v_mov_b32_e32 v7, 0                                        // 000000005FAC: 7E0E0280
	s_or_b32 s9, s9, 0x40000                                   // 000000005FB0: 8709FF09 00040000
	s_mov_b64 exec, s[36:37]                                   // 000000005FB8: BEFE0124
	v_mov_b32_e32 v6, v68                                      // 000000005FBC: 7E0C0344
	s_mov_b64 s[60:61], 0                                      // 000000005FC0: BEBC0180
	v_readlane_b32 s82, v3, 0                                  // 000000005FC4: D2890052 00010103
	s_and_b32 s82, s82, 0xffffff                               // 000000005FCC: 8652FF52 00FFFFFF
	s_cmp_lt_u32 s82, s66                                      // 000000005FD4: BF0A4252
	s_cselect_b32 s20, s36, s60                                // 000000005FD8: 85143C24
	v_readlane_b32 s82, v3, 1                                  // 000000005FDC: D2890052 00010303
	s_and_b32 s82, s82, 0xffffff                               // 000000005FE4: 8652FF52 00FFFFFF
	s_cmp_lt_u32 s82, s66                                      // 000000005FEC: BF0A4252
	s_cselect_b32 s21, s36, s60                                // 000000005FF0: 85153C24
	s_mov_b64 exec, s[20:21]                                   // 000000005FF4: BEFE0114
	buffer_store_dword v92, v6, s[8:11], 0 offen               // 000000005FF8: E0701000 80025C06
	s_mov_b64 exec, s[36:37]                                   // 000000006000: BEFE0124
	v_mov_b32_e32 v6, v69                                      // 000000006004: 7E0C0345
	s_mov_b64 s[60:61], 0                                      // 000000006008: BEBC0180
	v_readlane_b32 s82, v3, 2                                  // 00000000600C: D2890052 00010503
	s_and_b32 s82, s82, 0xffffff                               // 000000006014: 8652FF52 00FFFFFF
	s_cmp_lt_u32 s82, s66                                      // 00000000601C: BF0A4252
	s_cselect_b32 s20, s36, s60                                // 000000006020: 85143C24
	v_readlane_b32 s82, v3, 3                                  // 000000006024: D2890052 00010703
	s_and_b32 s82, s82, 0xffffff                               // 00000000602C: 8652FF52 00FFFFFF
	s_cmp_lt_u32 s82, s66                                      // 000000006034: BF0A4252
	s_cselect_b32 s21, s36, s60                                // 000000006038: 85153C24
	s_mov_b64 exec, s[20:21]                                   // 00000000603C: BEFE0114
	buffer_store_dword v93, v6, s[8:11], 0 offen               // 000000006040: E0701000 80025D06
	s_mov_b64 exec, s[36:37]                                   // 000000006048: BEFE0124
	v_mov_b32_e32 v6, v70                                      // 00000000604C: 7E0C0346
	s_mov_b64 s[60:61], 0                                      // 000000006050: BEBC0180
	v_readlane_b32 s82, v3, 4                                  // 000000006054: D2890052 00010903
	s_and_b32 s82, s82, 0xffffff                               // 00000000605C: 8652FF52 00FFFFFF
	s_cmp_lt_u32 s82, s66                                      // 000000006064: BF0A4252
	s_cselect_b32 s20, s36, s60                                // 000000006068: 85143C24
	v_readlane_b32 s82, v3, 5                                  // 00000000606C: D2890052 00010B03
	s_and_b32 s82, s82, 0xffffff                               // 000000006074: 8652FF52 00FFFFFF
	s_cmp_lt_u32 s82, s66                                      // 00000000607C: BF0A4252
	s_cselect_b32 s21, s36, s60                                // 000000006080: 85153C24
	s_mov_b64 exec, s[20:21]                                   // 000000006084: BEFE0114
	buffer_store_dword v94, v6, s[8:11], 0 offen               // 000000006088: E0701000 80025E06
	s_mov_b64 exec, s[36:37]                                   // 000000006090: BEFE0124
	v_mov_b32_e32 v6, v71                                      // 000000006094: 7E0C0347
	s_mov_b64 s[60:61], 0                                      // 000000006098: BEBC0180
	v_readlane_b32 s82, v3, 6                                  // 00000000609C: D2890052 00010D03
	s_and_b32 s82, s82, 0xffffff                               // 0000000060A4: 8652FF52 00FFFFFF
	s_cmp_lt_u32 s82, s66                                      // 0000000060AC: BF0A4252
	s_cselect_b32 s20, s36, s60                                // 0000000060B0: 85143C24
	v_readlane_b32 s82, v3, 7                                  // 0000000060B4: D2890052 00010F03
	s_and_b32 s82, s82, 0xffffff                               // 0000000060BC: 8652FF52 00FFFFFF
	s_cmp_lt_u32 s82, s66                                      // 0000000060C4: BF0A4252
	s_cselect_b32 s21, s36, s60                                // 0000000060C8: 85153C24
	s_mov_b64 exec, s[20:21]                                   // 0000000060CC: BEFE0114
	buffer_store_dword v95, v6, s[8:11], 0 offen               // 0000000060D0: E0701000 80025F06
	s_mov_b64 exec, s[36:37]                                   // 0000000060D8: BEFE0124
	v_mov_b32_e32 v6, v72                                      // 0000000060DC: 7E0C0348
	s_mov_b64 s[60:61], 0                                      // 0000000060E0: BEBC0180
	v_readlane_b32 s82, v3, 8                                  // 0000000060E4: D2890052 00011103
	s_and_b32 s82, s82, 0xffffff                               // 0000000060EC: 8652FF52 00FFFFFF
	s_cmp_lt_u32 s82, s66                                      // 0000000060F4: BF0A4252
	s_cselect_b32 s20, s36, s60                                // 0000000060F8: 85143C24
	v_readlane_b32 s82, v3, 9                                  // 0000000060FC: D2890052 00011303
	s_and_b32 s82, s82, 0xffffff                               // 000000006104: 8652FF52 00FFFFFF
	s_cmp_lt_u32 s82, s66                                      // 00000000610C: BF0A4252
	s_cselect_b32 s21, s36, s60                                // 000000006110: 85153C24
	s_mov_b64 exec, s[20:21]                                   // 000000006114: BEFE0114
	buffer_store_dword v96, v6, s[8:11], 0 offen               // 000000006118: E0701000 80026006
	s_mov_b64 exec, s[36:37]                                   // 000000006120: BEFE0124
	v_mov_b32_e32 v6, v73                                      // 000000006124: 7E0C0349
	s_mov_b64 s[60:61], 0                                      // 000000006128: BEBC0180
	v_readlane_b32 s82, v3, 10                                 // 00000000612C: D2890052 00011503
	s_and_b32 s82, s82, 0xffffff                               // 000000006134: 8652FF52 00FFFFFF
	s_cmp_lt_u32 s82, s66                                      // 00000000613C: BF0A4252
	s_cselect_b32 s20, s36, s60                                // 000000006140: 85143C24
	v_readlane_b32 s82, v3, 11                                 // 000000006144: D2890052 00011703
	s_and_b32 s82, s82, 0xffffff                               // 00000000614C: 8652FF52 00FFFFFF
	s_cmp_lt_u32 s82, s66                                      // 000000006154: BF0A4252
	s_cselect_b32 s21, s36, s60                                // 000000006158: 85153C24
	s_mov_b64 exec, s[20:21]                                   // 00000000615C: BEFE0114
	buffer_store_dword v97, v6, s[8:11], 0 offen               // 000000006160: E0701000 80026106
	s_mov_b64 exec, s[36:37]                                   // 000000006168: BEFE0124
	v_mov_b32_e32 v6, v74                                      // 00000000616C: 7E0C034A
	s_mov_b64 s[60:61], 0                                      // 000000006170: BEBC0180
	v_readlane_b32 s82, v3, 12                                 // 000000006174: D2890052 00011903
	s_and_b32 s82, s82, 0xffffff                               // 00000000617C: 8652FF52 00FFFFFF
	s_cmp_lt_u32 s82, s66                                      // 000000006184: BF0A4252
	s_cselect_b32 s20, s36, s60                                // 000000006188: 85143C24
	v_readlane_b32 s82, v3, 13                                 // 00000000618C: D2890052 00011B03
	s_and_b32 s82, s82, 0xffffff                               // 000000006194: 8652FF52 00FFFFFF
	s_cmp_lt_u32 s82, s66                                      // 00000000619C: BF0A4252
	s_cselect_b32 s21, s36, s60                                // 0000000061A0: 85153C24
	s_mov_b64 exec, s[20:21]                                   // 0000000061A4: BEFE0114
	buffer_store_dword v98, v6, s[8:11], 0 offen               // 0000000061A8: E0701000 80026206
	s_mov_b64 exec, s[36:37]                                   // 0000000061B0: BEFE0124
	v_mov_b32_e32 v6, v75                                      // 0000000061B4: 7E0C034B
	s_mov_b64 s[60:61], 0                                      // 0000000061B8: BEBC0180
	v_readlane_b32 s82, v3, 14                                 // 0000000061BC: D2890052 00011D03
	s_and_b32 s82, s82, 0xffffff                               // 0000000061C4: 8652FF52 00FFFFFF
	s_cmp_lt_u32 s82, s66                                      // 0000000061CC: BF0A4252
	s_cselect_b32 s20, s36, s60                                // 0000000061D0: 85143C24
	v_readlane_b32 s82, v3, 15                                 // 0000000061D4: D2890052 00011F03
	s_and_b32 s82, s82, 0xffffff                               // 0000000061DC: 8652FF52 00FFFFFF
	s_cmp_lt_u32 s82, s66                                      // 0000000061E4: BF0A4252
	s_cselect_b32 s21, s36, s60                                // 0000000061E8: 85153C24
	s_mov_b64 exec, s[20:21]                                   // 0000000061EC: BEFE0114
	buffer_store_dword v99, v6, s[8:11], 0 offen               // 0000000061F0: E0701000 80026306
	s_mov_b64 exec, s[36:37]                                   // 0000000061F8: BEFE0124
	v_mov_b32_e32 v6, v76                                      // 0000000061FC: 7E0C034C
	s_mov_b64 s[60:61], 0                                      // 000000006200: BEBC0180
	v_readlane_b32 s82, v3, 16                                 // 000000006204: D2890052 00012103
	s_and_b32 s82, s82, 0xffffff                               // 00000000620C: 8652FF52 00FFFFFF
	s_cmp_lt_u32 s82, s66                                      // 000000006214: BF0A4252
	s_cselect_b32 s20, s36, s60                                // 000000006218: 85143C24
	v_readlane_b32 s82, v3, 17                                 // 00000000621C: D2890052 00012303
	s_and_b32 s82, s82, 0xffffff                               // 000000006224: 8652FF52 00FFFFFF
	s_cmp_lt_u32 s82, s66                                      // 00000000622C: BF0A4252
	s_cselect_b32 s21, s36, s60                                // 000000006230: 85153C24
	s_mov_b64 exec, s[20:21]                                   // 000000006234: BEFE0114
	buffer_store_dword v100, v6, s[8:11], 0 offen              // 000000006238: E0701000 80026406
	s_mov_b64 exec, s[36:37]                                   // 000000006240: BEFE0124
	v_mov_b32_e32 v6, v77                                      // 000000006244: 7E0C034D
	s_mov_b64 s[60:61], 0                                      // 000000006248: BEBC0180
	v_readlane_b32 s82, v3, 18                                 // 00000000624C: D2890052 00012503
	s_and_b32 s82, s82, 0xffffff                               // 000000006254: 8652FF52 00FFFFFF
	s_cmp_lt_u32 s82, s66                                      // 00000000625C: BF0A4252
	s_cselect_b32 s20, s36, s60                                // 000000006260: 85143C24
	v_readlane_b32 s82, v3, 19                                 // 000000006264: D2890052 00012703
	s_and_b32 s82, s82, 0xffffff                               // 00000000626C: 8652FF52 00FFFFFF
	s_cmp_lt_u32 s82, s66                                      // 000000006274: BF0A4252
	s_cselect_b32 s21, s36, s60                                // 000000006278: 85153C24
	s_mov_b64 exec, s[20:21]                                   // 00000000627C: BEFE0114
	buffer_store_dword v101, v6, s[8:11], 0 offen              // 000000006280: E0701000 80026506
	s_mov_b64 exec, s[36:37]                                   // 000000006288: BEFE0124
	v_mov_b32_e32 v6, v78                                      // 00000000628C: 7E0C034E
	s_mov_b64 s[60:61], 0                                      // 000000006290: BEBC0180
	v_readlane_b32 s82, v3, 20                                 // 000000006294: D2890052 00012903
	s_and_b32 s82, s82, 0xffffff                               // 00000000629C: 8652FF52 00FFFFFF
	s_cmp_lt_u32 s82, s66                                      // 0000000062A4: BF0A4252
	s_cselect_b32 s20, s36, s60                                // 0000000062A8: 85143C24
	v_readlane_b32 s82, v3, 21                                 // 0000000062AC: D2890052 00012B03
	s_and_b32 s82, s82, 0xffffff                               // 0000000062B4: 8652FF52 00FFFFFF
	s_cmp_lt_u32 s82, s66                                      // 0000000062BC: BF0A4252
	s_cselect_b32 s21, s36, s60                                // 0000000062C0: 85153C24
	s_mov_b64 exec, s[20:21]                                   // 0000000062C4: BEFE0114
	buffer_store_dword v102, v6, s[8:11], 0 offen              // 0000000062C8: E0701000 80026606
	s_mov_b64 exec, s[36:37]                                   // 0000000062D0: BEFE0124
	v_mov_b32_e32 v6, v79                                      // 0000000062D4: 7E0C034F
	s_mov_b64 s[60:61], 0                                      // 0000000062D8: BEBC0180
	v_readlane_b32 s82, v3, 22                                 // 0000000062DC: D2890052 00012D03
	s_and_b32 s82, s82, 0xffffff                               // 0000000062E4: 8652FF52 00FFFFFF
	s_cmp_lt_u32 s82, s66                                      // 0000000062EC: BF0A4252
	s_cselect_b32 s20, s36, s60                                // 0000000062F0: 85143C24
	v_readlane_b32 s82, v3, 23                                 // 0000000062F4: D2890052 00012F03
	s_and_b32 s82, s82, 0xffffff                               // 0000000062FC: 8652FF52 00FFFFFF
	s_cmp_lt_u32 s82, s66                                      // 000000006304: BF0A4252
	s_cselect_b32 s21, s36, s60                                // 000000006308: 85153C24
	s_mov_b64 exec, s[20:21]                                   // 00000000630C: BEFE0114
	buffer_store_dword v103, v6, s[8:11], 0 offen              // 000000006310: E0701000 80026706
	s_mov_b64 exec, s[36:37]                                   // 000000006318: BEFE0124
	v_mov_b32_e32 v6, v80                                      // 00000000631C: 7E0C0350
	s_mov_b64 s[60:61], 0                                      // 000000006320: BEBC0180
	v_readlane_b32 s82, v3, 24                                 // 000000006324: D2890052 00013103
	s_and_b32 s82, s82, 0xffffff                               // 00000000632C: 8652FF52 00FFFFFF
	s_cmp_lt_u32 s82, s66                                      // 000000006334: BF0A4252
	s_cselect_b32 s20, s36, s60                                // 000000006338: 85143C24
	v_readlane_b32 s82, v3, 25                                 // 00000000633C: D2890052 00013303
	s_and_b32 s82, s82, 0xffffff                               // 000000006344: 8652FF52 00FFFFFF
	s_cmp_lt_u32 s82, s66                                      // 00000000634C: BF0A4252
	s_cselect_b32 s21, s36, s60                                // 000000006350: 85153C24
	s_mov_b64 exec, s[20:21]                                   // 000000006354: BEFE0114
	buffer_store_dword v104, v6, s[8:11], 0 offen              // 000000006358: E0701000 80026806
	s_mov_b64 exec, s[36:37]                                   // 000000006360: BEFE0124
	v_mov_b32_e32 v6, v81                                      // 000000006364: 7E0C0351
	s_mov_b64 s[60:61], 0                                      // 000000006368: BEBC0180
	v_readlane_b32 s82, v3, 26                                 // 00000000636C: D2890052 00013503
	s_and_b32 s82, s82, 0xffffff                               // 000000006374: 8652FF52 00FFFFFF
	s_cmp_lt_u32 s82, s66                                      // 00000000637C: BF0A4252
	s_cselect_b32 s20, s36, s60                                // 000000006380: 85143C24
	v_readlane_b32 s82, v3, 27                                 // 000000006384: D2890052 00013703
	s_and_b32 s82, s82, 0xffffff                               // 00000000638C: 8652FF52 00FFFFFF
	s_cmp_lt_u32 s82, s66                                      // 000000006394: BF0A4252
	s_cselect_b32 s21, s36, s60                                // 000000006398: 85153C24
	s_mov_b64 exec, s[20:21]                                   // 00000000639C: BEFE0114
	buffer_store_dword v105, v6, s[8:11], 0 offen              // 0000000063A0: E0701000 80026906
	s_mov_b64 exec, s[36:37]                                   // 0000000063A8: BEFE0124
	v_mov_b32_e32 v6, v82                                      // 0000000063AC: 7E0C0352
	s_mov_b64 s[60:61], 0                                      // 0000000063B0: BEBC0180
	v_readlane_b32 s82, v3, 28                                 // 0000000063B4: D2890052 00013903
	s_and_b32 s82, s82, 0xffffff                               // 0000000063BC: 8652FF52 00FFFFFF
	s_cmp_lt_u32 s82, s66                                      // 0000000063C4: BF0A4252
	s_cselect_b32 s20, s36, s60                                // 0000000063C8: 85143C24
	v_readlane_b32 s82, v3, 29                                 // 0000000063CC: D2890052 00013B03
	s_and_b32 s82, s82, 0xffffff                               // 0000000063D4: 8652FF52 00FFFFFF
	s_cmp_lt_u32 s82, s66                                      // 0000000063DC: BF0A4252
	s_cselect_b32 s21, s36, s60                                // 0000000063E0: 85153C24
	s_mov_b64 exec, s[20:21]                                   // 0000000063E4: BEFE0114
	buffer_store_dword v106, v6, s[8:11], 0 offen              // 0000000063E8: E0701000 80026A06
	s_mov_b64 exec, s[36:37]                                   // 0000000063F0: BEFE0124
	v_mov_b32_e32 v6, v83                                      // 0000000063F4: 7E0C0353
	s_mov_b64 s[60:61], 0                                      // 0000000063F8: BEBC0180
	v_readlane_b32 s82, v3, 30                                 // 0000000063FC: D2890052 00013D03
	s_and_b32 s82, s82, 0xffffff                               // 000000006404: 8652FF52 00FFFFFF
	s_cmp_lt_u32 s82, s66                                      // 00000000640C: BF0A4252
	s_cselect_b32 s20, s36, s60                                // 000000006410: 85143C24
	v_readlane_b32 s82, v3, 31                                 // 000000006414: D2890052 00013F03
	s_and_b32 s82, s82, 0xffffff                               // 00000000641C: 8652FF52 00FFFFFF
	s_cmp_lt_u32 s82, s66                                      // 000000006424: BF0A4252
	s_cselect_b32 s21, s36, s60                                // 000000006428: 85153C24
	s_mov_b64 exec, s[20:21]                                   // 00000000642C: BEFE0114
	buffer_store_dword v107, v6, s[8:11], 0 offen              // 000000006430: E0701000 80026B06
	s_mov_b64 exec, s[36:37]                                   // 000000006438: BEFE0124
	v_mov_b32_e32 v6, v84                                      // 00000000643C: 7E0C0354
	s_mov_b64 s[60:61], 0                                      // 000000006440: BEBC0180
	v_readlane_b32 s82, v3, 32                                 // 000000006444: D2890052 00014103
	s_and_b32 s82, s82, 0xffffff                               // 00000000644C: 8652FF52 00FFFFFF
	s_cmp_lt_u32 s82, s66                                      // 000000006454: BF0A4252
	s_cselect_b32 s20, s36, s60                                // 000000006458: 85143C24
	v_readlane_b32 s82, v3, 33                                 // 00000000645C: D2890052 00014303
	s_and_b32 s82, s82, 0xffffff                               // 000000006464: 8652FF52 00FFFFFF
	s_cmp_lt_u32 s82, s66                                      // 00000000646C: BF0A4252
	s_cselect_b32 s21, s36, s60                                // 000000006470: 85153C24
	s_mov_b64 exec, s[20:21]                                   // 000000006474: BEFE0114
	buffer_store_dword v108, v6, s[8:11], 0 offen              // 000000006478: E0701000 80026C06
	s_mov_b64 exec, s[36:37]                                   // 000000006480: BEFE0124
	v_mov_b32_e32 v6, v85                                      // 000000006484: 7E0C0355
	s_mov_b64 s[60:61], 0                                      // 000000006488: BEBC0180
	v_readlane_b32 s82, v3, 34                                 // 00000000648C: D2890052 00014503
	s_and_b32 s82, s82, 0xffffff                               // 000000006494: 8652FF52 00FFFFFF
	s_cmp_lt_u32 s82, s66                                      // 00000000649C: BF0A4252
	s_cselect_b32 s20, s36, s60                                // 0000000064A0: 85143C24
	v_readlane_b32 s82, v3, 35                                 // 0000000064A4: D2890052 00014703
	s_and_b32 s82, s82, 0xffffff                               // 0000000064AC: 8652FF52 00FFFFFF
	s_cmp_lt_u32 s82, s66                                      // 0000000064B4: BF0A4252
	s_cselect_b32 s21, s36, s60                                // 0000000064B8: 85153C24
	s_mov_b64 exec, s[20:21]                                   // 0000000064BC: BEFE0114
	buffer_store_dword v109, v6, s[8:11], 0 offen              // 0000000064C0: E0701000 80026D06
	s_mov_b64 exec, s[36:37]                                   // 0000000064C8: BEFE0124
	v_mov_b32_e32 v6, v86                                      // 0000000064CC: 7E0C0356
	s_mov_b64 s[60:61], 0                                      // 0000000064D0: BEBC0180
	v_readlane_b32 s82, v3, 36                                 // 0000000064D4: D2890052 00014903
	s_and_b32 s82, s82, 0xffffff                               // 0000000064DC: 8652FF52 00FFFFFF
	s_cmp_lt_u32 s82, s66                                      // 0000000064E4: BF0A4252
	s_cselect_b32 s20, s36, s60                                // 0000000064E8: 85143C24
	v_readlane_b32 s82, v3, 37                                 // 0000000064EC: D2890052 00014B03
	s_and_b32 s82, s82, 0xffffff                               // 0000000064F4: 8652FF52 00FFFFFF
	s_cmp_lt_u32 s82, s66                                      // 0000000064FC: BF0A4252
	s_cselect_b32 s21, s36, s60                                // 000000006500: 85153C24
	s_mov_b64 exec, s[20:21]                                   // 000000006504: BEFE0114
	buffer_store_dword v110, v6, s[8:11], 0 offen              // 000000006508: E0701000 80026E06
	s_mov_b64 exec, s[36:37]                                   // 000000006510: BEFE0124
	v_mov_b32_e32 v6, v87                                      // 000000006514: 7E0C0357
	s_mov_b64 s[60:61], 0                                      // 000000006518: BEBC0180
	v_readlane_b32 s82, v3, 38                                 // 00000000651C: D2890052 00014D03
	s_and_b32 s82, s82, 0xffffff                               // 000000006524: 8652FF52 00FFFFFF
	s_cmp_lt_u32 s82, s66                                      // 00000000652C: BF0A4252
	s_cselect_b32 s20, s36, s60                                // 000000006530: 85143C24
	v_readlane_b32 s82, v3, 39                                 // 000000006534: D2890052 00014F03
	s_and_b32 s82, s82, 0xffffff                               // 00000000653C: 8652FF52 00FFFFFF
	s_cmp_lt_u32 s82, s66                                      // 000000006544: BF0A4252
	s_cselect_b32 s21, s36, s60                                // 000000006548: 85153C24
	s_mov_b64 exec, s[20:21]                                   // 00000000654C: BEFE0114
	buffer_store_dword v111, v6, s[8:11], 0 offen              // 000000006550: E0701000 80026F06
	s_mov_b64 exec, s[36:37]                                   // 000000006558: BEFE0124
	s_branch label_2AA3                                        // 00000000655C: BF821BC8

0000000000006560 <label_0ED8>:
	ds_write_b64 v20, v[92:93]                                 // 000000006560: D89A0000 00005C14
	ds_write_b64 v20, v[96:97] offset:2176                     // 000000006568: D89A0880 00006014
	ds_write_b64 v20, v[100:101] offset:4352                   // 000000006570: D89A1100 00006414
	ds_write_b64 v20, v[104:105] offset:6528                   // 000000006578: D89A1980 00006814
	ds_write_b64 v20, v[108:109] offset:8704                   // 000000006580: D89A2200 00006C14
	ds_write_b64 v20, v[112:113] offset:10880                  // 000000006588: D89A2A80 00007014
	ds_write_b64 v20, v[116:117] offset:13056                  // 000000006590: D89A3300 00007414
	ds_write_b64 v20, v[120:121] offset:15232                  // 000000006598: D89A3B80 00007814
	ds_write_b64 v20, v[124:125] offset:17408                  // 0000000065A0: D89A4400 00007C14
	ds_write_b64 v20, v[128:129] offset:19584                  // 0000000065A8: D89A4C80 00008014
	v_lshrrev_b32_e32 v4, 5, v0                                // 0000000065B0: 20080085
	v_xor_b32_e32 v5, 1, v4                                    // 0000000065B4: 2A0A0881
	s_mul_i32 s60, s65, 2                                      // 0000000065B8: 923C8241
	s_cmp_eq_u32 s88, 0                                        // 0000000065BC: BF068058
	s_cselect_b32 s61, 1, 4                                    // 0000000065C0: 853D8481
	s_mul_i32 s60, s61, s60                                    // 0000000065C4: 923C3C3D
	v_readlane_b32 s82, v3, 0                                  // 0000000065C8: D2890052 00010103
	s_lshr_b32 s61, s82, 24                                    // 0000000065D0: 8F3D9852
	s_and_b32 s82, s82, 0xffffff                               // 0000000065D4: 8652FF52 00FFFFFF
	s_mul_i32 s82, s82, s71                                    // 0000000065DC: 92524752
	s_mul_i32 s61, s60, s61                                    // 0000000065E0: 923D3D3C
	s_add_u32 s82, s82, s61                                    // 0000000065E4: 80523D52
	v_mul_lo_u32 v6, v5, s82                                   // 0000000065E8: D2850006 0000A505
	v_readlane_b32 s82, v3, 1                                  // 0000000065F0: D2890052 00010303
	s_lshr_b32 s61, s82, 24                                    // 0000000065F8: 8F3D9852
	s_and_b32 s82, s82, 0xffffff                               // 0000000065FC: 8652FF52 00FFFFFF
	s_mul_i32 s82, s82, s71                                    // 000000006604: 92524752
	s_mul_i32 s61, s60, s61                                    // 000000006608: 923D3D3C
	s_add_u32 s82, s82, s61                                    // 00000000660C: 80523D52
	v_mul_lo_u32 v7, v4, s82                                   // 000000006610: D2850007 0000A504
	v_add_u32_e32 v68, v6, v7                                  // 000000006618: 68880F06
	v_readlane_b32 s82, v3, 2                                  // 00000000661C: D2890052 00010503
	s_lshr_b32 s61, s82, 24                                    // 000000006624: 8F3D9852
	s_and_b32 s82, s82, 0xffffff                               // 000000006628: 8652FF52 00FFFFFF
	s_mul_i32 s82, s82, s71                                    // 000000006630: 92524752
	s_mul_i32 s61, s60, s61                                    // 000000006634: 923D3D3C
	s_add_u32 s82, s82, s61                                    // 000000006638: 80523D52
	v_mul_lo_u32 v6, v5, s82                                   // 00000000663C: D2850006 0000A505
	v_readlane_b32 s82, v3, 3                                  // 000000006644: D2890052 00010703
	s_lshr_b32 s61, s82, 24                                    // 00000000664C: 8F3D9852
	s_and_b32 s82, s82, 0xffffff                               // 000000006650: 8652FF52 00FFFFFF
	s_mul_i32 s82, s82, s71                                    // 000000006658: 92524752
	s_mul_i32 s61, s60, s61                                    // 00000000665C: 923D3D3C
	s_add_u32 s82, s82, s61                                    // 000000006660: 80523D52
	v_mul_lo_u32 v7, v4, s82                                   // 000000006664: D2850007 0000A504
	v_add_u32_e32 v69, v6, v7                                  // 00000000666C: 688A0F06
	v_readlane_b32 s82, v3, 4                                  // 000000006670: D2890052 00010903
	s_lshr_b32 s61, s82, 24                                    // 000000006678: 8F3D9852
	s_and_b32 s82, s82, 0xffffff                               // 00000000667C: 8652FF52 00FFFFFF
	s_mul_i32 s82, s82, s71                                    // 000000006684: 92524752
	s_mul_i32 s61, s60, s61                                    // 000000006688: 923D3D3C
	s_add_u32 s82, s82, s61                                    // 00000000668C: 80523D52
	v_mul_lo_u32 v6, v5, s82                                   // 000000006690: D2850006 0000A505
	v_readlane_b32 s82, v3, 5                                  // 000000006698: D2890052 00010B03
	s_lshr_b32 s61, s82, 24                                    // 0000000066A0: 8F3D9852
	s_and_b32 s82, s82, 0xffffff                               // 0000000066A4: 8652FF52 00FFFFFF
	s_mul_i32 s82, s82, s71                                    // 0000000066AC: 92524752
	s_mul_i32 s61, s60, s61                                    // 0000000066B0: 923D3D3C
	s_add_u32 s82, s82, s61                                    // 0000000066B4: 80523D52
	v_mul_lo_u32 v7, v4, s82                                   // 0000000066B8: D2850007 0000A504
	v_add_u32_e32 v70, v6, v7                                  // 0000000066C0: 688C0F06
	v_readlane_b32 s82, v3, 6                                  // 0000000066C4: D2890052 00010D03
	s_lshr_b32 s61, s82, 24                                    // 0000000066CC: 8F3D9852
	s_and_b32 s82, s82, 0xffffff                               // 0000000066D0: 8652FF52 00FFFFFF
	s_mul_i32 s82, s82, s71                                    // 0000000066D8: 92524752
	s_mul_i32 s61, s60, s61                                    // 0000000066DC: 923D3D3C
	s_add_u32 s82, s82, s61                                    // 0000000066E0: 80523D52
	v_mul_lo_u32 v6, v5, s82                                   // 0000000066E4: D2850006 0000A505
	v_readlane_b32 s82, v3, 7                                  // 0000000066EC: D2890052 00010F03
	s_lshr_b32 s61, s82, 24                                    // 0000000066F4: 8F3D9852
	s_and_b32 s82, s82, 0xffffff                               // 0000000066F8: 8652FF52 00FFFFFF
	s_mul_i32 s82, s82, s71                                    // 000000006700: 92524752
	s_mul_i32 s61, s60, s61                                    // 000000006704: 923D3D3C
	s_add_u32 s82, s82, s61                                    // 000000006708: 80523D52
	v_mul_lo_u32 v7, v4, s82                                   // 00000000670C: D2850007 0000A504
	v_add_u32_e32 v71, v6, v7                                  // 000000006714: 688E0F06
	v_readlane_b32 s82, v3, 8                                  // 000000006718: D2890052 00011103
	s_lshr_b32 s61, s82, 24                                    // 000000006720: 8F3D9852
	s_and_b32 s82, s82, 0xffffff                               // 000000006724: 8652FF52 00FFFFFF
	s_mul_i32 s82, s82, s71                                    // 00000000672C: 92524752
	s_mul_i32 s61, s60, s61                                    // 000000006730: 923D3D3C
	s_add_u32 s82, s82, s61                                    // 000000006734: 80523D52
	v_mul_lo_u32 v6, v5, s82                                   // 000000006738: D2850006 0000A505
	v_readlane_b32 s82, v3, 9                                  // 000000006740: D2890052 00011303
	s_lshr_b32 s61, s82, 24                                    // 000000006748: 8F3D9852
	s_and_b32 s82, s82, 0xffffff                               // 00000000674C: 8652FF52 00FFFFFF
	s_mul_i32 s82, s82, s71                                    // 000000006754: 92524752
	s_mul_i32 s61, s60, s61                                    // 000000006758: 923D3D3C
	s_add_u32 s82, s82, s61                                    // 00000000675C: 80523D52
	v_mul_lo_u32 v7, v4, s82                                   // 000000006760: D2850007 0000A504
	v_add_u32_e32 v72, v6, v7                                  // 000000006768: 68900F06
	v_readlane_b32 s82, v3, 10                                 // 00000000676C: D2890052 00011503
	s_lshr_b32 s61, s82, 24                                    // 000000006774: 8F3D9852
	s_and_b32 s82, s82, 0xffffff                               // 000000006778: 8652FF52 00FFFFFF
	s_mul_i32 s82, s82, s71                                    // 000000006780: 92524752
	s_mul_i32 s61, s60, s61                                    // 000000006784: 923D3D3C
	s_add_u32 s82, s82, s61                                    // 000000006788: 80523D52
	v_mul_lo_u32 v6, v5, s82                                   // 00000000678C: D2850006 0000A505
	v_readlane_b32 s82, v3, 11                                 // 000000006794: D2890052 00011703
	s_lshr_b32 s61, s82, 24                                    // 00000000679C: 8F3D9852
	s_and_b32 s82, s82, 0xffffff                               // 0000000067A0: 8652FF52 00FFFFFF
	s_mul_i32 s82, s82, s71                                    // 0000000067A8: 92524752
	s_mul_i32 s61, s60, s61                                    // 0000000067AC: 923D3D3C
	s_add_u32 s82, s82, s61                                    // 0000000067B0: 80523D52
	v_mul_lo_u32 v7, v4, s82                                   // 0000000067B4: D2850007 0000A504
	v_add_u32_e32 v73, v6, v7                                  // 0000000067BC: 68920F06
	v_readlane_b32 s82, v3, 12                                 // 0000000067C0: D2890052 00011903
	s_lshr_b32 s61, s82, 24                                    // 0000000067C8: 8F3D9852
	s_and_b32 s82, s82, 0xffffff                               // 0000000067CC: 8652FF52 00FFFFFF
	s_mul_i32 s82, s82, s71                                    // 0000000067D4: 92524752
	s_mul_i32 s61, s60, s61                                    // 0000000067D8: 923D3D3C
	s_add_u32 s82, s82, s61                                    // 0000000067DC: 80523D52
	v_mul_lo_u32 v6, v5, s82                                   // 0000000067E0: D2850006 0000A505
	v_readlane_b32 s82, v3, 13                                 // 0000000067E8: D2890052 00011B03
	s_lshr_b32 s61, s82, 24                                    // 0000000067F0: 8F3D9852
	s_and_b32 s82, s82, 0xffffff                               // 0000000067F4: 8652FF52 00FFFFFF
	s_mul_i32 s82, s82, s71                                    // 0000000067FC: 92524752
	s_mul_i32 s61, s60, s61                                    // 000000006800: 923D3D3C
	s_add_u32 s82, s82, s61                                    // 000000006804: 80523D52
	v_mul_lo_u32 v7, v4, s82                                   // 000000006808: D2850007 0000A504
	v_add_u32_e32 v74, v6, v7                                  // 000000006810: 68940F06
	v_readlane_b32 s82, v3, 14                                 // 000000006814: D2890052 00011D03
	s_lshr_b32 s61, s82, 24                                    // 00000000681C: 8F3D9852
	s_and_b32 s82, s82, 0xffffff                               // 000000006820: 8652FF52 00FFFFFF
	s_mul_i32 s82, s82, s71                                    // 000000006828: 92524752
	s_mul_i32 s61, s60, s61                                    // 00000000682C: 923D3D3C
	s_add_u32 s82, s82, s61                                    // 000000006830: 80523D52
	v_mul_lo_u32 v6, v5, s82                                   // 000000006834: D2850006 0000A505
	v_readlane_b32 s82, v3, 15                                 // 00000000683C: D2890052 00011F03
	s_lshr_b32 s61, s82, 24                                    // 000000006844: 8F3D9852
	s_and_b32 s82, s82, 0xffffff                               // 000000006848: 8652FF52 00FFFFFF
	s_mul_i32 s82, s82, s71                                    // 000000006850: 92524752
	s_mul_i32 s61, s60, s61                                    // 000000006854: 923D3D3C
	s_add_u32 s82, s82, s61                                    // 000000006858: 80523D52
	v_mul_lo_u32 v7, v4, s82                                   // 00000000685C: D2850007 0000A504
	v_add_u32_e32 v75, v6, v7                                  // 000000006864: 68960F06
	v_readlane_b32 s82, v3, 16                                 // 000000006868: D2890052 00012103
	s_lshr_b32 s61, s82, 24                                    // 000000006870: 8F3D9852
	s_and_b32 s82, s82, 0xffffff                               // 000000006874: 8652FF52 00FFFFFF
	s_mul_i32 s82, s82, s71                                    // 00000000687C: 92524752
	s_mul_i32 s61, s60, s61                                    // 000000006880: 923D3D3C
	s_add_u32 s82, s82, s61                                    // 000000006884: 80523D52
	v_mul_lo_u32 v6, v5, s82                                   // 000000006888: D2850006 0000A505
	v_readlane_b32 s82, v3, 17                                 // 000000006890: D2890052 00012303
	s_lshr_b32 s61, s82, 24                                    // 000000006898: 8F3D9852
	s_and_b32 s82, s82, 0xffffff                               // 00000000689C: 8652FF52 00FFFFFF
	s_mul_i32 s82, s82, s71                                    // 0000000068A4: 92524752
	s_mul_i32 s61, s60, s61                                    // 0000000068A8: 923D3D3C
	s_add_u32 s82, s82, s61                                    // 0000000068AC: 80523D52
	v_mul_lo_u32 v7, v4, s82                                   // 0000000068B0: D2850007 0000A504
	v_add_u32_e32 v76, v6, v7                                  // 0000000068B8: 68980F06
	v_readlane_b32 s82, v3, 18                                 // 0000000068BC: D2890052 00012503
	s_lshr_b32 s61, s82, 24                                    // 0000000068C4: 8F3D9852
	s_and_b32 s82, s82, 0xffffff                               // 0000000068C8: 8652FF52 00FFFFFF
	s_mul_i32 s82, s82, s71                                    // 0000000068D0: 92524752
	s_mul_i32 s61, s60, s61                                    // 0000000068D4: 923D3D3C
	s_add_u32 s82, s82, s61                                    // 0000000068D8: 80523D52
	v_mul_lo_u32 v6, v5, s82                                   // 0000000068DC: D2850006 0000A505
	v_readlane_b32 s82, v3, 19                                 // 0000000068E4: D2890052 00012703
	s_lshr_b32 s61, s82, 24                                    // 0000000068EC: 8F3D9852
	s_and_b32 s82, s82, 0xffffff                               // 0000000068F0: 8652FF52 00FFFFFF
	s_mul_i32 s82, s82, s71                                    // 0000000068F8: 92524752
	s_mul_i32 s61, s60, s61                                    // 0000000068FC: 923D3D3C
	s_add_u32 s82, s82, s61                                    // 000000006900: 80523D52
	v_mul_lo_u32 v7, v4, s82                                   // 000000006904: D2850007 0000A504
	v_add_u32_e32 v77, v6, v7                                  // 00000000690C: 689A0F06
	v_readlane_b32 s82, v3, 20                                 // 000000006910: D2890052 00012903
	s_lshr_b32 s61, s82, 24                                    // 000000006918: 8F3D9852
	s_and_b32 s82, s82, 0xffffff                               // 00000000691C: 8652FF52 00FFFFFF
	s_mul_i32 s82, s82, s71                                    // 000000006924: 92524752
	s_mul_i32 s61, s60, s61                                    // 000000006928: 923D3D3C
	s_add_u32 s82, s82, s61                                    // 00000000692C: 80523D52
	v_mul_lo_u32 v6, v5, s82                                   // 000000006930: D2850006 0000A505
	v_readlane_b32 s82, v3, 21                                 // 000000006938: D2890052 00012B03
	s_lshr_b32 s61, s82, 24                                    // 000000006940: 8F3D9852
	s_and_b32 s82, s82, 0xffffff                               // 000000006944: 8652FF52 00FFFFFF
	s_mul_i32 s82, s82, s71                                    // 00000000694C: 92524752
	s_mul_i32 s61, s60, s61                                    // 000000006950: 923D3D3C
	s_add_u32 s82, s82, s61                                    // 000000006954: 80523D52
	v_mul_lo_u32 v7, v4, s82                                   // 000000006958: D2850007 0000A504
	v_add_u32_e32 v78, v6, v7                                  // 000000006960: 689C0F06
	v_readlane_b32 s82, v3, 22                                 // 000000006964: D2890052 00012D03
	s_lshr_b32 s61, s82, 24                                    // 00000000696C: 8F3D9852
	s_and_b32 s82, s82, 0xffffff                               // 000000006970: 8652FF52 00FFFFFF
	s_mul_i32 s82, s82, s71                                    // 000000006978: 92524752
	s_mul_i32 s61, s60, s61                                    // 00000000697C: 923D3D3C
	s_add_u32 s82, s82, s61                                    // 000000006980: 80523D52
	v_mul_lo_u32 v6, v5, s82                                   // 000000006984: D2850006 0000A505
	v_readlane_b32 s82, v3, 23                                 // 00000000698C: D2890052 00012F03
	s_lshr_b32 s61, s82, 24                                    // 000000006994: 8F3D9852
	s_and_b32 s82, s82, 0xffffff                               // 000000006998: 8652FF52 00FFFFFF
	s_mul_i32 s82, s82, s71                                    // 0000000069A0: 92524752
	s_mul_i32 s61, s60, s61                                    // 0000000069A4: 923D3D3C
	s_add_u32 s82, s82, s61                                    // 0000000069A8: 80523D52
	v_mul_lo_u32 v7, v4, s82                                   // 0000000069AC: D2850007 0000A504
	v_add_u32_e32 v79, v6, v7                                  // 0000000069B4: 689E0F06
	v_readlane_b32 s82, v3, 24                                 // 0000000069B8: D2890052 00013103
	s_lshr_b32 s61, s82, 24                                    // 0000000069C0: 8F3D9852
	s_and_b32 s82, s82, 0xffffff                               // 0000000069C4: 8652FF52 00FFFFFF
	s_mul_i32 s82, s82, s71                                    // 0000000069CC: 92524752
	s_mul_i32 s61, s60, s61                                    // 0000000069D0: 923D3D3C
	s_add_u32 s82, s82, s61                                    // 0000000069D4: 80523D52
	v_mul_lo_u32 v6, v5, s82                                   // 0000000069D8: D2850006 0000A505
	v_readlane_b32 s82, v3, 25                                 // 0000000069E0: D2890052 00013303
	s_lshr_b32 s61, s82, 24                                    // 0000000069E8: 8F3D9852
	s_and_b32 s82, s82, 0xffffff                               // 0000000069EC: 8652FF52 00FFFFFF
	s_mul_i32 s82, s82, s71                                    // 0000000069F4: 92524752
	s_mul_i32 s61, s60, s61                                    // 0000000069F8: 923D3D3C
	s_add_u32 s82, s82, s61                                    // 0000000069FC: 80523D52
	v_mul_lo_u32 v7, v4, s82                                   // 000000006A00: D2850007 0000A504
	v_add_u32_e32 v80, v6, v7                                  // 000000006A08: 68A00F06
	v_readlane_b32 s82, v3, 26                                 // 000000006A0C: D2890052 00013503
	s_lshr_b32 s61, s82, 24                                    // 000000006A14: 8F3D9852
	s_and_b32 s82, s82, 0xffffff                               // 000000006A18: 8652FF52 00FFFFFF
	s_mul_i32 s82, s82, s71                                    // 000000006A20: 92524752
	s_mul_i32 s61, s60, s61                                    // 000000006A24: 923D3D3C
	s_add_u32 s82, s82, s61                                    // 000000006A28: 80523D52
	v_mul_lo_u32 v6, v5, s82                                   // 000000006A2C: D2850006 0000A505
	v_readlane_b32 s82, v3, 27                                 // 000000006A34: D2890052 00013703
	s_lshr_b32 s61, s82, 24                                    // 000000006A3C: 8F3D9852
	s_and_b32 s82, s82, 0xffffff                               // 000000006A40: 8652FF52 00FFFFFF
	s_mul_i32 s82, s82, s71                                    // 000000006A48: 92524752
	s_mul_i32 s61, s60, s61                                    // 000000006A4C: 923D3D3C
	s_add_u32 s82, s82, s61                                    // 000000006A50: 80523D52
	v_mul_lo_u32 v7, v4, s82                                   // 000000006A54: D2850007 0000A504
	v_add_u32_e32 v81, v6, v7                                  // 000000006A5C: 68A20F06
	v_readlane_b32 s82, v3, 28                                 // 000000006A60: D2890052 00013903
	s_lshr_b32 s61, s82, 24                                    // 000000006A68: 8F3D9852
	s_and_b32 s82, s82, 0xffffff                               // 000000006A6C: 8652FF52 00FFFFFF
	s_mul_i32 s82, s82, s71                                    // 000000006A74: 92524752
	s_mul_i32 s61, s60, s61                                    // 000000006A78: 923D3D3C
	s_add_u32 s82, s82, s61                                    // 000000006A7C: 80523D52
	v_mul_lo_u32 v6, v5, s82                                   // 000000006A80: D2850006 0000A505
	v_readlane_b32 s82, v3, 29                                 // 000000006A88: D2890052 00013B03
	s_lshr_b32 s61, s82, 24                                    // 000000006A90: 8F3D9852
	s_and_b32 s82, s82, 0xffffff                               // 000000006A94: 8652FF52 00FFFFFF
	s_mul_i32 s82, s82, s71                                    // 000000006A9C: 92524752
	s_mul_i32 s61, s60, s61                                    // 000000006AA0: 923D3D3C
	s_add_u32 s82, s82, s61                                    // 000000006AA4: 80523D52
	v_mul_lo_u32 v7, v4, s82                                   // 000000006AA8: D2850007 0000A504
	v_add_u32_e32 v82, v6, v7                                  // 000000006AB0: 68A40F06
	v_readlane_b32 s82, v3, 30                                 // 000000006AB4: D2890052 00013D03
	s_lshr_b32 s61, s82, 24                                    // 000000006ABC: 8F3D9852
	s_and_b32 s82, s82, 0xffffff                               // 000000006AC0: 8652FF52 00FFFFFF
	s_mul_i32 s82, s82, s71                                    // 000000006AC8: 92524752
	s_mul_i32 s61, s60, s61                                    // 000000006ACC: 923D3D3C
	s_add_u32 s82, s82, s61                                    // 000000006AD0: 80523D52
	v_mul_lo_u32 v6, v5, s82                                   // 000000006AD4: D2850006 0000A505
	v_readlane_b32 s82, v3, 31                                 // 000000006ADC: D2890052 00013F03
	s_lshr_b32 s61, s82, 24                                    // 000000006AE4: 8F3D9852
	s_and_b32 s82, s82, 0xffffff                               // 000000006AE8: 8652FF52 00FFFFFF
	s_mul_i32 s82, s82, s71                                    // 000000006AF0: 92524752
	s_mul_i32 s61, s60, s61                                    // 000000006AF4: 923D3D3C
	s_add_u32 s82, s82, s61                                    // 000000006AF8: 80523D52
	v_mul_lo_u32 v7, v4, s82                                   // 000000006AFC: D2850007 0000A504
	v_add_u32_e32 v83, v6, v7                                  // 000000006B04: 68A60F06
	v_readlane_b32 s82, v3, 32                                 // 000000006B08: D2890052 00014103
	s_lshr_b32 s61, s82, 24                                    // 000000006B10: 8F3D9852
	s_and_b32 s82, s82, 0xffffff                               // 000000006B14: 8652FF52 00FFFFFF
	s_mul_i32 s82, s82, s71                                    // 000000006B1C: 92524752
	s_mul_i32 s61, s60, s61                                    // 000000006B20: 923D3D3C
	s_add_u32 s82, s82, s61                                    // 000000006B24: 80523D52
	v_mul_lo_u32 v6, v5, s82                                   // 000000006B28: D2850006 0000A505
	v_readlane_b32 s82, v3, 33                                 // 000000006B30: D2890052 00014303
	s_lshr_b32 s61, s82, 24                                    // 000000006B38: 8F3D9852
	s_and_b32 s82, s82, 0xffffff                               // 000000006B3C: 8652FF52 00FFFFFF
	s_mul_i32 s82, s82, s71                                    // 000000006B44: 92524752
	s_mul_i32 s61, s60, s61                                    // 000000006B48: 923D3D3C
	s_add_u32 s82, s82, s61                                    // 000000006B4C: 80523D52
	v_mul_lo_u32 v7, v4, s82                                   // 000000006B50: D2850007 0000A504
	v_add_u32_e32 v84, v6, v7                                  // 000000006B58: 68A80F06
	v_readlane_b32 s82, v3, 34                                 // 000000006B5C: D2890052 00014503
	s_lshr_b32 s61, s82, 24                                    // 000000006B64: 8F3D9852
	s_and_b32 s82, s82, 0xffffff                               // 000000006B68: 8652FF52 00FFFFFF
	s_mul_i32 s82, s82, s71                                    // 000000006B70: 92524752
	s_mul_i32 s61, s60, s61                                    // 000000006B74: 923D3D3C
	s_add_u32 s82, s82, s61                                    // 000000006B78: 80523D52
	v_mul_lo_u32 v6, v5, s82                                   // 000000006B7C: D2850006 0000A505
	v_readlane_b32 s82, v3, 35                                 // 000000006B84: D2890052 00014703
	s_lshr_b32 s61, s82, 24                                    // 000000006B8C: 8F3D9852
	s_and_b32 s82, s82, 0xffffff                               // 000000006B90: 8652FF52 00FFFFFF
	s_mul_i32 s82, s82, s71                                    // 000000006B98: 92524752
	s_mul_i32 s61, s60, s61                                    // 000000006B9C: 923D3D3C
	s_add_u32 s82, s82, s61                                    // 000000006BA0: 80523D52
	v_mul_lo_u32 v7, v4, s82                                   // 000000006BA4: D2850007 0000A504
	v_add_u32_e32 v85, v6, v7                                  // 000000006BAC: 68AA0F06
	v_readlane_b32 s82, v3, 36                                 // 000000006BB0: D2890052 00014903
	s_lshr_b32 s61, s82, 24                                    // 000000006BB8: 8F3D9852
	s_and_b32 s82, s82, 0xffffff                               // 000000006BBC: 8652FF52 00FFFFFF
	s_mul_i32 s82, s82, s71                                    // 000000006BC4: 92524752
	s_mul_i32 s61, s60, s61                                    // 000000006BC8: 923D3D3C
	s_add_u32 s82, s82, s61                                    // 000000006BCC: 80523D52
	v_mul_lo_u32 v6, v5, s82                                   // 000000006BD0: D2850006 0000A505
	v_readlane_b32 s82, v3, 37                                 // 000000006BD8: D2890052 00014B03
	s_lshr_b32 s61, s82, 24                                    // 000000006BE0: 8F3D9852
	s_and_b32 s82, s82, 0xffffff                               // 000000006BE4: 8652FF52 00FFFFFF
	s_mul_i32 s82, s82, s71                                    // 000000006BEC: 92524752
	s_mul_i32 s61, s60, s61                                    // 000000006BF0: 923D3D3C
	s_add_u32 s82, s82, s61                                    // 000000006BF4: 80523D52
	v_mul_lo_u32 v7, v4, s82                                   // 000000006BF8: D2850007 0000A504
	v_add_u32_e32 v86, v6, v7                                  // 000000006C00: 68AC0F06
	v_readlane_b32 s82, v3, 38                                 // 000000006C04: D2890052 00014D03
	s_lshr_b32 s61, s82, 24                                    // 000000006C0C: 8F3D9852
	s_and_b32 s82, s82, 0xffffff                               // 000000006C10: 8652FF52 00FFFFFF
	s_mul_i32 s82, s82, s71                                    // 000000006C18: 92524752
	s_mul_i32 s61, s60, s61                                    // 000000006C1C: 923D3D3C
	s_add_u32 s82, s82, s61                                    // 000000006C20: 80523D52
	v_mul_lo_u32 v6, v5, s82                                   // 000000006C24: D2850006 0000A505
	v_readlane_b32 s82, v3, 39                                 // 000000006C2C: D2890052 00014F03
	s_lshr_b32 s61, s82, 24                                    // 000000006C34: 8F3D9852
	s_and_b32 s82, s82, 0xffffff                               // 000000006C38: 8652FF52 00FFFFFF
	s_mul_i32 s82, s82, s71                                    // 000000006C40: 92524752
	s_mul_i32 s61, s60, s61                                    // 000000006C44: 923D3D3C
	s_add_u32 s82, s82, s61                                    // 000000006C48: 80523D52
	v_mul_lo_u32 v7, v4, s82                                   // 000000006C4C: D2850007 0000A504
	v_add_u32_e32 v87, v6, v7                                  // 000000006C54: 68AE0F06
	v_and_b32_e32 v4, 31, v0                                   // 000000006C58: 2608009F
	v_lshrrev_b32_e32 v4, 1, v4                                // 000000006C5C: 20080881
	s_cmp_eq_u32 s88, 0                                        // 000000006C60: BF068058
	s_cselect_b32 s61, 2, 4                                    // 000000006C64: 853D8482
	v_mul_lo_u32 v4, v4, s61                                   // 000000006C68: D2850004 00007B04
	v_and_b32_e64 v5, v0, 1                                    // 000000006C70: D1130005 00010300
	v_add_u32_e32 v4, v4, v5                                   // 000000006C78: 68080B04
	v_lshlrev_b32_e32 v4, 2, v4                                // 000000006C7C: 24080882
	v_add_u32_e32 v68, v68, v4                                 // 000000006C80: 68880944
	v_add_u32_e32 v69, v69, v4                                 // 000000006C84: 688A0945
	v_add_u32_e32 v70, v70, v4                                 // 000000006C88: 688C0946
	v_add_u32_e32 v71, v71, v4                                 // 000000006C8C: 688E0947
	v_add_u32_e32 v72, v72, v4                                 // 000000006C90: 68900948
	v_add_u32_e32 v73, v73, v4                                 // 000000006C94: 68920949
	v_add_u32_e32 v74, v74, v4                                 // 000000006C98: 6894094A
	v_add_u32_e32 v75, v75, v4                                 // 000000006C9C: 6896094B
	v_add_u32_e32 v76, v76, v4                                 // 000000006CA0: 6898094C
	v_add_u32_e32 v77, v77, v4                                 // 000000006CA4: 689A094D
	v_add_u32_e32 v78, v78, v4                                 // 000000006CA8: 689C094E
	v_add_u32_e32 v79, v79, v4                                 // 000000006CAC: 689E094F
	v_add_u32_e32 v80, v80, v4                                 // 000000006CB0: 68A00950
	v_add_u32_e32 v81, v81, v4                                 // 000000006CB4: 68A20951
	v_add_u32_e32 v82, v82, v4                                 // 000000006CB8: 68A40952
	v_add_u32_e32 v83, v83, v4                                 // 000000006CBC: 68A60953
	v_add_u32_e32 v84, v84, v4                                 // 000000006CC0: 68A80954
	v_add_u32_e32 v85, v85, v4                                 // 000000006CC4: 68AA0955
	v_add_u32_e32 v86, v86, v4                                 // 000000006CC8: 68AC0956
	v_add_u32_e32 v87, v87, v4                                 // 000000006CCC: 68AE0957
	s_waitcnt lgkmcnt(0)                                       // 000000006CD0: BF8CC07F
	s_barrier                                                  // 000000006CD4: BF8A0000
	ds_read_b32 v92, v21                                       // 000000006CD8: D86C0000 5C000015
	ds_read_b32 v93, v21 offset:64                             // 000000006CE0: D86C0040 5D000015
	ds_read_b32 v96, v21 offset:2176                           // 000000006CE8: D86C0880 60000015
	ds_read_b32 v97, v21 offset:2240                           // 000000006CF0: D86C08C0 61000015
	ds_read_b32 v100, v21 offset:4352                          // 000000006CF8: D86C1100 64000015
	ds_read_b32 v101, v21 offset:4416                          // 000000006D00: D86C1140 65000015
	ds_read_b32 v104, v21 offset:6528                          // 000000006D08: D86C1980 68000015
	ds_read_b32 v105, v21 offset:6592                          // 000000006D10: D86C19C0 69000015
	ds_read_b32 v108, v21 offset:8704                          // 000000006D18: D86C2200 6C000015
	ds_read_b32 v109, v21 offset:8768                          // 000000006D20: D86C2240 6D000015
	ds_read_b32 v112, v21 offset:10880                         // 000000006D28: D86C2A80 70000015
	ds_read_b32 v113, v21 offset:10944                         // 000000006D30: D86C2AC0 71000015
	ds_read_b32 v116, v21 offset:13056                         // 000000006D38: D86C3300 74000015
	ds_read_b32 v117, v21 offset:13120                         // 000000006D40: D86C3340 75000015
	ds_read_b32 v120, v21 offset:15232                         // 000000006D48: D86C3B80 78000015
	ds_read_b32 v121, v21 offset:15296                         // 000000006D50: D86C3BC0 79000015
	ds_read_b32 v124, v21 offset:17408                         // 000000006D58: D86C4400 7C000015
	ds_read_b32 v125, v21 offset:17472                         // 000000006D60: D86C4440 7D000015
	ds_read_b32 v128, v21 offset:19584                         // 000000006D68: D86C4C80 80000015
	ds_read_b32 v129, v21 offset:19648                         // 000000006D70: D86C4CC0 81000015
	s_waitcnt lgkmcnt(0)                                       // 000000006D78: BF8CC07F
	s_mov_b32 s36, -1                                          // 000000006D7C: BEA400C1
	s_mov_b32 s37, -1                                          // 000000006D80: BEA500C1
	v_mov_b32_e32 v7, 0                                        // 000000006D84: 7E0E0280
	s_mov_b64 exec, s[36:37]                                   // 000000006D88: BEFE0124
	v_mov_b32_e32 v6, v68                                      // 000000006D8C: 7E0C0344
	s_mov_b64 s[60:61], 0                                      // 000000006D90: BEBC0180
	v_readlane_b32 s82, v3, 0                                  // 000000006D94: D2890052 00010103
	s_and_b32 s82, s82, 0xffffff                               // 000000006D9C: 8652FF52 00FFFFFF
	s_cmp_lt_u32 s82, s66                                      // 000000006DA4: BF0A4252
	s_cselect_b32 s20, s36, s60                                // 000000006DA8: 85143C24
	v_readlane_b32 s82, v3, 1                                  // 000000006DAC: D2890052 00010303
	s_and_b32 s82, s82, 0xffffff                               // 000000006DB4: 8652FF52 00FFFFFF
	s_cmp_lt_u32 s82, s66                                      // 000000006DBC: BF0A4252
	s_cselect_b32 s21, s36, s60                                // 000000006DC0: 85153C24
	s_mov_b64 exec, s[20:21]                                   // 000000006DC4: BEFE0114
	global_atomic_add_f32 v6, v92, s[8:9]                      // 000000006DC8: DD348000 00085C06
	s_mov_b64 exec, s[36:37]                                   // 000000006DD0: BEFE0124
	v_mov_b32_e32 v6, v69                                      // 000000006DD4: 7E0C0345
	s_mov_b64 s[60:61], 0                                      // 000000006DD8: BEBC0180
	v_readlane_b32 s82, v3, 2                                  // 000000006DDC: D2890052 00010503
	s_and_b32 s82, s82, 0xffffff                               // 000000006DE4: 8652FF52 00FFFFFF
	s_cmp_lt_u32 s82, s66                                      // 000000006DEC: BF0A4252
	s_cselect_b32 s20, s36, s60                                // 000000006DF0: 85143C24
	v_readlane_b32 s82, v3, 3                                  // 000000006DF4: D2890052 00010703
	s_and_b32 s82, s82, 0xffffff                               // 000000006DFC: 8652FF52 00FFFFFF
	s_cmp_lt_u32 s82, s66                                      // 000000006E04: BF0A4252
	s_cselect_b32 s21, s36, s60                                // 000000006E08: 85153C24
	s_mov_b64 exec, s[20:21]                                   // 000000006E0C: BEFE0114
	global_atomic_add_f32 v6, v93, s[8:9]                      // 000000006E10: DD348000 00085D06
	s_mov_b64 exec, s[36:37]                                   // 000000006E18: BEFE0124
	v_mov_b32_e32 v6, v70                                      // 000000006E1C: 7E0C0346
	s_mov_b64 s[60:61], 0                                      // 000000006E20: BEBC0180
	v_readlane_b32 s82, v3, 4                                  // 000000006E24: D2890052 00010903
	s_and_b32 s82, s82, 0xffffff                               // 000000006E2C: 8652FF52 00FFFFFF
	s_cmp_lt_u32 s82, s66                                      // 000000006E34: BF0A4252
	s_cselect_b32 s20, s36, s60                                // 000000006E38: 85143C24
	v_readlane_b32 s82, v3, 5                                  // 000000006E3C: D2890052 00010B03
	s_and_b32 s82, s82, 0xffffff                               // 000000006E44: 8652FF52 00FFFFFF
	s_cmp_lt_u32 s82, s66                                      // 000000006E4C: BF0A4252
	s_cselect_b32 s21, s36, s60                                // 000000006E50: 85153C24
	s_mov_b64 exec, s[20:21]                                   // 000000006E54: BEFE0114
	global_atomic_add_f32 v6, v96, s[8:9]                      // 000000006E58: DD348000 00086006
	s_mov_b64 exec, s[36:37]                                   // 000000006E60: BEFE0124
	v_mov_b32_e32 v6, v71                                      // 000000006E64: 7E0C0347
	s_mov_b64 s[60:61], 0                                      // 000000006E68: BEBC0180
	v_readlane_b32 s82, v3, 6                                  // 000000006E6C: D2890052 00010D03
	s_and_b32 s82, s82, 0xffffff                               // 000000006E74: 8652FF52 00FFFFFF
	s_cmp_lt_u32 s82, s66                                      // 000000006E7C: BF0A4252
	s_cselect_b32 s20, s36, s60                                // 000000006E80: 85143C24
	v_readlane_b32 s82, v3, 7                                  // 000000006E84: D2890052 00010F03
	s_and_b32 s82, s82, 0xffffff                               // 000000006E8C: 8652FF52 00FFFFFF
	s_cmp_lt_u32 s82, s66                                      // 000000006E94: BF0A4252
	s_cselect_b32 s21, s36, s60                                // 000000006E98: 85153C24
	s_mov_b64 exec, s[20:21]                                   // 000000006E9C: BEFE0114
	global_atomic_add_f32 v6, v97, s[8:9]                      // 000000006EA0: DD348000 00086106
	s_mov_b64 exec, s[36:37]                                   // 000000006EA8: BEFE0124
	v_mov_b32_e32 v6, v72                                      // 000000006EAC: 7E0C0348
	s_mov_b64 s[60:61], 0                                      // 000000006EB0: BEBC0180
	v_readlane_b32 s82, v3, 8                                  // 000000006EB4: D2890052 00011103
	s_and_b32 s82, s82, 0xffffff                               // 000000006EBC: 8652FF52 00FFFFFF
	s_cmp_lt_u32 s82, s66                                      // 000000006EC4: BF0A4252
	s_cselect_b32 s20, s36, s60                                // 000000006EC8: 85143C24
	v_readlane_b32 s82, v3, 9                                  // 000000006ECC: D2890052 00011303
	s_and_b32 s82, s82, 0xffffff                               // 000000006ED4: 8652FF52 00FFFFFF
	s_cmp_lt_u32 s82, s66                                      // 000000006EDC: BF0A4252
	s_cselect_b32 s21, s36, s60                                // 000000006EE0: 85153C24
	s_mov_b64 exec, s[20:21]                                   // 000000006EE4: BEFE0114
	global_atomic_add_f32 v6, v100, s[8:9]                     // 000000006EE8: DD348000 00086406
	s_mov_b64 exec, s[36:37]                                   // 000000006EF0: BEFE0124
	v_mov_b32_e32 v6, v73                                      // 000000006EF4: 7E0C0349
	s_mov_b64 s[60:61], 0                                      // 000000006EF8: BEBC0180
	v_readlane_b32 s82, v3, 10                                 // 000000006EFC: D2890052 00011503
	s_and_b32 s82, s82, 0xffffff                               // 000000006F04: 8652FF52 00FFFFFF
	s_cmp_lt_u32 s82, s66                                      // 000000006F0C: BF0A4252
	s_cselect_b32 s20, s36, s60                                // 000000006F10: 85143C24
	v_readlane_b32 s82, v3, 11                                 // 000000006F14: D2890052 00011703
	s_and_b32 s82, s82, 0xffffff                               // 000000006F1C: 8652FF52 00FFFFFF
	s_cmp_lt_u32 s82, s66                                      // 000000006F24: BF0A4252
	s_cselect_b32 s21, s36, s60                                // 000000006F28: 85153C24
	s_mov_b64 exec, s[20:21]                                   // 000000006F2C: BEFE0114
	global_atomic_add_f32 v6, v101, s[8:9]                     // 000000006F30: DD348000 00086506
	s_mov_b64 exec, s[36:37]                                   // 000000006F38: BEFE0124
	v_mov_b32_e32 v6, v74                                      // 000000006F3C: 7E0C034A
	s_mov_b64 s[60:61], 0                                      // 000000006F40: BEBC0180
	v_readlane_b32 s82, v3, 12                                 // 000000006F44: D2890052 00011903
	s_and_b32 s82, s82, 0xffffff                               // 000000006F4C: 8652FF52 00FFFFFF
	s_cmp_lt_u32 s82, s66                                      // 000000006F54: BF0A4252
	s_cselect_b32 s20, s36, s60                                // 000000006F58: 85143C24
	v_readlane_b32 s82, v3, 13                                 // 000000006F5C: D2890052 00011B03
	s_and_b32 s82, s82, 0xffffff                               // 000000006F64: 8652FF52 00FFFFFF
	s_cmp_lt_u32 s82, s66                                      // 000000006F6C: BF0A4252
	s_cselect_b32 s21, s36, s60                                // 000000006F70: 85153C24
	s_mov_b64 exec, s[20:21]                                   // 000000006F74: BEFE0114
	global_atomic_add_f32 v6, v104, s[8:9]                     // 000000006F78: DD348000 00086806
	s_mov_b64 exec, s[36:37]                                   // 000000006F80: BEFE0124
	v_mov_b32_e32 v6, v75                                      // 000000006F84: 7E0C034B
	s_mov_b64 s[60:61], 0                                      // 000000006F88: BEBC0180
	v_readlane_b32 s82, v3, 14                                 // 000000006F8C: D2890052 00011D03
	s_and_b32 s82, s82, 0xffffff                               // 000000006F94: 8652FF52 00FFFFFF
	s_cmp_lt_u32 s82, s66                                      // 000000006F9C: BF0A4252
	s_cselect_b32 s20, s36, s60                                // 000000006FA0: 85143C24
	v_readlane_b32 s82, v3, 15                                 // 000000006FA4: D2890052 00011F03
	s_and_b32 s82, s82, 0xffffff                               // 000000006FAC: 8652FF52 00FFFFFF
	s_cmp_lt_u32 s82, s66                                      // 000000006FB4: BF0A4252
	s_cselect_b32 s21, s36, s60                                // 000000006FB8: 85153C24
	s_mov_b64 exec, s[20:21]                                   // 000000006FBC: BEFE0114
	global_atomic_add_f32 v6, v105, s[8:9]                     // 000000006FC0: DD348000 00086906
	s_mov_b64 exec, s[36:37]                                   // 000000006FC8: BEFE0124
	v_mov_b32_e32 v6, v76                                      // 000000006FCC: 7E0C034C
	s_mov_b64 s[60:61], 0                                      // 000000006FD0: BEBC0180
	v_readlane_b32 s82, v3, 16                                 // 000000006FD4: D2890052 00012103
	s_and_b32 s82, s82, 0xffffff                               // 000000006FDC: 8652FF52 00FFFFFF
	s_cmp_lt_u32 s82, s66                                      // 000000006FE4: BF0A4252
	s_cselect_b32 s20, s36, s60                                // 000000006FE8: 85143C24
	v_readlane_b32 s82, v3, 17                                 // 000000006FEC: D2890052 00012303
	s_and_b32 s82, s82, 0xffffff                               // 000000006FF4: 8652FF52 00FFFFFF
	s_cmp_lt_u32 s82, s66                                      // 000000006FFC: BF0A4252
	s_cselect_b32 s21, s36, s60                                // 000000007000: 85153C24
	s_mov_b64 exec, s[20:21]                                   // 000000007004: BEFE0114
	global_atomic_add_f32 v6, v108, s[8:9]                     // 000000007008: DD348000 00086C06
	s_mov_b64 exec, s[36:37]                                   // 000000007010: BEFE0124
	v_mov_b32_e32 v6, v77                                      // 000000007014: 7E0C034D
	s_mov_b64 s[60:61], 0                                      // 000000007018: BEBC0180
	v_readlane_b32 s82, v3, 18                                 // 00000000701C: D2890052 00012503
	s_and_b32 s82, s82, 0xffffff                               // 000000007024: 8652FF52 00FFFFFF
	s_cmp_lt_u32 s82, s66                                      // 00000000702C: BF0A4252
	s_cselect_b32 s20, s36, s60                                // 000000007030: 85143C24
	v_readlane_b32 s82, v3, 19                                 // 000000007034: D2890052 00012703
	s_and_b32 s82, s82, 0xffffff                               // 00000000703C: 8652FF52 00FFFFFF
	s_cmp_lt_u32 s82, s66                                      // 000000007044: BF0A4252
	s_cselect_b32 s21, s36, s60                                // 000000007048: 85153C24
	s_mov_b64 exec, s[20:21]                                   // 00000000704C: BEFE0114
	global_atomic_add_f32 v6, v109, s[8:9]                     // 000000007050: DD348000 00086D06
	s_mov_b64 exec, s[36:37]                                   // 000000007058: BEFE0124
	v_mov_b32_e32 v6, v78                                      // 00000000705C: 7E0C034E
	s_mov_b64 s[60:61], 0                                      // 000000007060: BEBC0180
	v_readlane_b32 s82, v3, 20                                 // 000000007064: D2890052 00012903
	s_and_b32 s82, s82, 0xffffff                               // 00000000706C: 8652FF52 00FFFFFF
	s_cmp_lt_u32 s82, s66                                      // 000000007074: BF0A4252
	s_cselect_b32 s20, s36, s60                                // 000000007078: 85143C24
	v_readlane_b32 s82, v3, 21                                 // 00000000707C: D2890052 00012B03
	s_and_b32 s82, s82, 0xffffff                               // 000000007084: 8652FF52 00FFFFFF
	s_cmp_lt_u32 s82, s66                                      // 00000000708C: BF0A4252
	s_cselect_b32 s21, s36, s60                                // 000000007090: 85153C24
	s_mov_b64 exec, s[20:21]                                   // 000000007094: BEFE0114
	global_atomic_add_f32 v6, v112, s[8:9]                     // 000000007098: DD348000 00087006
	s_mov_b64 exec, s[36:37]                                   // 0000000070A0: BEFE0124
	v_mov_b32_e32 v6, v79                                      // 0000000070A4: 7E0C034F
	s_mov_b64 s[60:61], 0                                      // 0000000070A8: BEBC0180
	v_readlane_b32 s82, v3, 22                                 // 0000000070AC: D2890052 00012D03
	s_and_b32 s82, s82, 0xffffff                               // 0000000070B4: 8652FF52 00FFFFFF
	s_cmp_lt_u32 s82, s66                                      // 0000000070BC: BF0A4252
	s_cselect_b32 s20, s36, s60                                // 0000000070C0: 85143C24
	v_readlane_b32 s82, v3, 23                                 // 0000000070C4: D2890052 00012F03
	s_and_b32 s82, s82, 0xffffff                               // 0000000070CC: 8652FF52 00FFFFFF
	s_cmp_lt_u32 s82, s66                                      // 0000000070D4: BF0A4252
	s_cselect_b32 s21, s36, s60                                // 0000000070D8: 85153C24
	s_mov_b64 exec, s[20:21]                                   // 0000000070DC: BEFE0114
	global_atomic_add_f32 v6, v113, s[8:9]                     // 0000000070E0: DD348000 00087106
	s_mov_b64 exec, s[36:37]                                   // 0000000070E8: BEFE0124
	v_mov_b32_e32 v6, v80                                      // 0000000070EC: 7E0C0350
	s_mov_b64 s[60:61], 0                                      // 0000000070F0: BEBC0180
	v_readlane_b32 s82, v3, 24                                 // 0000000070F4: D2890052 00013103
	s_and_b32 s82, s82, 0xffffff                               // 0000000070FC: 8652FF52 00FFFFFF
	s_cmp_lt_u32 s82, s66                                      // 000000007104: BF0A4252
	s_cselect_b32 s20, s36, s60                                // 000000007108: 85143C24
	v_readlane_b32 s82, v3, 25                                 // 00000000710C: D2890052 00013303
	s_and_b32 s82, s82, 0xffffff                               // 000000007114: 8652FF52 00FFFFFF
	s_cmp_lt_u32 s82, s66                                      // 00000000711C: BF0A4252
	s_cselect_b32 s21, s36, s60                                // 000000007120: 85153C24
	s_mov_b64 exec, s[20:21]                                   // 000000007124: BEFE0114
	global_atomic_add_f32 v6, v116, s[8:9]                     // 000000007128: DD348000 00087406
	s_mov_b64 exec, s[36:37]                                   // 000000007130: BEFE0124
	v_mov_b32_e32 v6, v81                                      // 000000007134: 7E0C0351
	s_mov_b64 s[60:61], 0                                      // 000000007138: BEBC0180
	v_readlane_b32 s82, v3, 26                                 // 00000000713C: D2890052 00013503
	s_and_b32 s82, s82, 0xffffff                               // 000000007144: 8652FF52 00FFFFFF
	s_cmp_lt_u32 s82, s66                                      // 00000000714C: BF0A4252
	s_cselect_b32 s20, s36, s60                                // 000000007150: 85143C24
	v_readlane_b32 s82, v3, 27                                 // 000000007154: D2890052 00013703
	s_and_b32 s82, s82, 0xffffff                               // 00000000715C: 8652FF52 00FFFFFF
	s_cmp_lt_u32 s82, s66                                      // 000000007164: BF0A4252
	s_cselect_b32 s21, s36, s60                                // 000000007168: 85153C24
	s_mov_b64 exec, s[20:21]                                   // 00000000716C: BEFE0114
	global_atomic_add_f32 v6, v117, s[8:9]                     // 000000007170: DD348000 00087506
	s_mov_b64 exec, s[36:37]                                   // 000000007178: BEFE0124
	v_mov_b32_e32 v6, v82                                      // 00000000717C: 7E0C0352
	s_mov_b64 s[60:61], 0                                      // 000000007180: BEBC0180
	v_readlane_b32 s82, v3, 28                                 // 000000007184: D2890052 00013903
	s_and_b32 s82, s82, 0xffffff                               // 00000000718C: 8652FF52 00FFFFFF
	s_cmp_lt_u32 s82, s66                                      // 000000007194: BF0A4252
	s_cselect_b32 s20, s36, s60                                // 000000007198: 85143C24
	v_readlane_b32 s82, v3, 29                                 // 00000000719C: D2890052 00013B03
	s_and_b32 s82, s82, 0xffffff                               // 0000000071A4: 8652FF52 00FFFFFF
	s_cmp_lt_u32 s82, s66                                      // 0000000071AC: BF0A4252
	s_cselect_b32 s21, s36, s60                                // 0000000071B0: 85153C24
	s_mov_b64 exec, s[20:21]                                   // 0000000071B4: BEFE0114
	global_atomic_add_f32 v6, v120, s[8:9]                     // 0000000071B8: DD348000 00087806
	s_mov_b64 exec, s[36:37]                                   // 0000000071C0: BEFE0124
	v_mov_b32_e32 v6, v83                                      // 0000000071C4: 7E0C0353
	s_mov_b64 s[60:61], 0                                      // 0000000071C8: BEBC0180
	v_readlane_b32 s82, v3, 30                                 // 0000000071CC: D2890052 00013D03
	s_and_b32 s82, s82, 0xffffff                               // 0000000071D4: 8652FF52 00FFFFFF
	s_cmp_lt_u32 s82, s66                                      // 0000000071DC: BF0A4252
	s_cselect_b32 s20, s36, s60                                // 0000000071E0: 85143C24
	v_readlane_b32 s82, v3, 31                                 // 0000000071E4: D2890052 00013F03
	s_and_b32 s82, s82, 0xffffff                               // 0000000071EC: 8652FF52 00FFFFFF
	s_cmp_lt_u32 s82, s66                                      // 0000000071F4: BF0A4252
	s_cselect_b32 s21, s36, s60                                // 0000000071F8: 85153C24
	s_mov_b64 exec, s[20:21]                                   // 0000000071FC: BEFE0114
	global_atomic_add_f32 v6, v121, s[8:9]                     // 000000007200: DD348000 00087906
	s_mov_b64 exec, s[36:37]                                   // 000000007208: BEFE0124
	v_mov_b32_e32 v6, v84                                      // 00000000720C: 7E0C0354
	s_mov_b64 s[60:61], 0                                      // 000000007210: BEBC0180
	v_readlane_b32 s82, v3, 32                                 // 000000007214: D2890052 00014103
	s_and_b32 s82, s82, 0xffffff                               // 00000000721C: 8652FF52 00FFFFFF
	s_cmp_lt_u32 s82, s66                                      // 000000007224: BF0A4252
	s_cselect_b32 s20, s36, s60                                // 000000007228: 85143C24
	v_readlane_b32 s82, v3, 33                                 // 00000000722C: D2890052 00014303
	s_and_b32 s82, s82, 0xffffff                               // 000000007234: 8652FF52 00FFFFFF
	s_cmp_lt_u32 s82, s66                                      // 00000000723C: BF0A4252
	s_cselect_b32 s21, s36, s60                                // 000000007240: 85153C24
	s_mov_b64 exec, s[20:21]                                   // 000000007244: BEFE0114
	global_atomic_add_f32 v6, v124, s[8:9]                     // 000000007248: DD348000 00087C06
	s_mov_b64 exec, s[36:37]                                   // 000000007250: BEFE0124
	v_mov_b32_e32 v6, v85                                      // 000000007254: 7E0C0355
	s_mov_b64 s[60:61], 0                                      // 000000007258: BEBC0180
	v_readlane_b32 s82, v3, 34                                 // 00000000725C: D2890052 00014503
	s_and_b32 s82, s82, 0xffffff                               // 000000007264: 8652FF52 00FFFFFF
	s_cmp_lt_u32 s82, s66                                      // 00000000726C: BF0A4252
	s_cselect_b32 s20, s36, s60                                // 000000007270: 85143C24
	v_readlane_b32 s82, v3, 35                                 // 000000007274: D2890052 00014703
	s_and_b32 s82, s82, 0xffffff                               // 00000000727C: 8652FF52 00FFFFFF
	s_cmp_lt_u32 s82, s66                                      // 000000007284: BF0A4252
	s_cselect_b32 s21, s36, s60                                // 000000007288: 85153C24
	s_mov_b64 exec, s[20:21]                                   // 00000000728C: BEFE0114
	global_atomic_add_f32 v6, v125, s[8:9]                     // 000000007290: DD348000 00087D06
	s_mov_b64 exec, s[36:37]                                   // 000000007298: BEFE0124
	v_mov_b32_e32 v6, v86                                      // 00000000729C: 7E0C0356
	s_mov_b64 s[60:61], 0                                      // 0000000072A0: BEBC0180
	v_readlane_b32 s82, v3, 36                                 // 0000000072A4: D2890052 00014903
	s_and_b32 s82, s82, 0xffffff                               // 0000000072AC: 8652FF52 00FFFFFF
	s_cmp_lt_u32 s82, s66                                      // 0000000072B4: BF0A4252
	s_cselect_b32 s20, s36, s60                                // 0000000072B8: 85143C24
	v_readlane_b32 s82, v3, 37                                 // 0000000072BC: D2890052 00014B03
	s_and_b32 s82, s82, 0xffffff                               // 0000000072C4: 8652FF52 00FFFFFF
	s_cmp_lt_u32 s82, s66                                      // 0000000072CC: BF0A4252
	s_cselect_b32 s21, s36, s60                                // 0000000072D0: 85153C24
	s_mov_b64 exec, s[20:21]                                   // 0000000072D4: BEFE0114
	global_atomic_add_f32 v6, v128, s[8:9]                     // 0000000072D8: DD348000 00088006
	s_mov_b64 exec, s[36:37]                                   // 0000000072E0: BEFE0124
	v_mov_b32_e32 v6, v87                                      // 0000000072E4: 7E0C0357
	s_mov_b64 s[60:61], 0                                      // 0000000072E8: BEBC0180
	v_readlane_b32 s82, v3, 38                                 // 0000000072EC: D2890052 00014D03
	s_and_b32 s82, s82, 0xffffff                               // 0000000072F4: 8652FF52 00FFFFFF
	s_cmp_lt_u32 s82, s66                                      // 0000000072FC: BF0A4252
	s_cselect_b32 s20, s36, s60                                // 000000007300: 85143C24
	v_readlane_b32 s82, v3, 39                                 // 000000007304: D2890052 00014F03
	s_and_b32 s82, s82, 0xffffff                               // 00000000730C: 8652FF52 00FFFFFF
	s_cmp_lt_u32 s82, s66                                      // 000000007314: BF0A4252
	s_cselect_b32 s21, s36, s60                                // 000000007318: 85153C24
	s_mov_b64 exec, s[20:21]                                   // 00000000731C: BEFE0114
	global_atomic_add_f32 v6, v129, s[8:9]                     // 000000007320: DD348000 00088106
	s_mov_b64 exec, s[36:37]                                   // 000000007328: BEFE0124
	ds_write_b64 v20, v[94:95]                                 // 00000000732C: D89A0000 00005E14
	ds_write_b64 v20, v[98:99] offset:2176                     // 000000007334: D89A0880 00006214
	ds_write_b64 v20, v[102:103] offset:4352                   // 00000000733C: D89A1100 00006614
	ds_write_b64 v20, v[106:107] offset:6528                   // 000000007344: D89A1980 00006A14
	ds_write_b64 v20, v[110:111] offset:8704                   // 00000000734C: D89A2200 00006E14
	ds_write_b64 v20, v[114:115] offset:10880                  // 000000007354: D89A2A80 00007214
	ds_write_b64 v20, v[118:119] offset:13056                  // 00000000735C: D89A3300 00007614
	ds_write_b64 v20, v[122:123] offset:15232                  // 000000007364: D89A3B80 00007A14
	ds_write_b64 v20, v[126:127] offset:17408                  // 00000000736C: D89A4400 00007E14
	ds_write_b64 v20, v[130:131] offset:19584                  // 000000007374: D89A4C80 00008214
	s_waitcnt lgkmcnt(0)                                       // 00000000737C: BF8CC07F
	s_barrier                                                  // 000000007380: BF8A0000
	ds_read_b32 v94, v21                                       // 000000007384: D86C0000 5E000015
	ds_read_b32 v95, v21 offset:64                             // 00000000738C: D86C0040 5F000015
	ds_read_b32 v98, v21 offset:2176                           // 000000007394: D86C0880 62000015
	ds_read_b32 v99, v21 offset:2240                           // 00000000739C: D86C08C0 63000015
	ds_read_b32 v102, v21 offset:4352                          // 0000000073A4: D86C1100 66000015
	ds_read_b32 v103, v21 offset:4416                          // 0000000073AC: D86C1140 67000015
	ds_read_b32 v106, v21 offset:6528                          // 0000000073B4: D86C1980 6A000015
	ds_read_b32 v107, v21 offset:6592                          // 0000000073BC: D86C19C0 6B000015
	ds_read_b32 v110, v21 offset:8704                          // 0000000073C4: D86C2200 6E000015
	ds_read_b32 v111, v21 offset:8768                          // 0000000073CC: D86C2240 6F000015
	ds_read_b32 v114, v21 offset:10880                         // 0000000073D4: D86C2A80 72000015
	ds_read_b32 v115, v21 offset:10944                         // 0000000073DC: D86C2AC0 73000015
	ds_read_b32 v118, v21 offset:13056                         // 0000000073E4: D86C3300 76000015
	ds_read_b32 v119, v21 offset:13120                         // 0000000073EC: D86C3340 77000015
	ds_read_b32 v122, v21 offset:15232                         // 0000000073F4: D86C3B80 7A000015
	ds_read_b32 v123, v21 offset:15296                         // 0000000073FC: D86C3BC0 7B000015
	ds_read_b32 v126, v21 offset:17408                         // 000000007404: D86C4400 7E000015
	ds_read_b32 v127, v21 offset:17472                         // 00000000740C: D86C4440 7F000015
	ds_read_b32 v130, v21 offset:19584                         // 000000007414: D86C4C80 82000015
	ds_read_b32 v131, v21 offset:19648                         // 00000000741C: D86C4CC0 83000015
	s_waitcnt lgkmcnt(0)                                       // 000000007424: BF8CC07F
	v_mov_b32_e32 v7, 0                                        // 000000007428: 7E0E0280
	s_mov_b64 exec, s[36:37]                                   // 00000000742C: BEFE0124
	v_mov_b32_e32 v6, v68                                      // 000000007430: 7E0C0344
	s_mov_b64 s[60:61], 0                                      // 000000007434: BEBC0180
	v_readlane_b32 s82, v3, 0                                  // 000000007438: D2890052 00010103
	s_and_b32 s82, s82, 0xffffff                               // 000000007440: 8652FF52 00FFFFFF
	s_cmp_lt_u32 s82, s66                                      // 000000007448: BF0A4252
	s_cselect_b32 s20, s36, s60                                // 00000000744C: 85143C24
	v_readlane_b32 s82, v3, 1                                  // 000000007450: D2890052 00010303
	s_and_b32 s82, s82, 0xffffff                               // 000000007458: 8652FF52 00FFFFFF
	s_cmp_lt_u32 s82, s66                                      // 000000007460: BF0A4252
	s_cselect_b32 s21, s36, s60                                // 000000007464: 85153C24
	s_mov_b64 exec, s[20:21]                                   // 000000007468: BEFE0114
	global_atomic_add_f32 v6, v94, s[8:9] offset:8             // 00000000746C: DD348008 00085E06
	s_mov_b64 exec, s[36:37]                                   // 000000007474: BEFE0124
	v_mov_b32_e32 v6, v69                                      // 000000007478: 7E0C0345
	s_mov_b64 s[60:61], 0                                      // 00000000747C: BEBC0180
	v_readlane_b32 s82, v3, 2                                  // 000000007480: D2890052 00010503
	s_and_b32 s82, s82, 0xffffff                               // 000000007488: 8652FF52 00FFFFFF
	s_cmp_lt_u32 s82, s66                                      // 000000007490: BF0A4252
	s_cselect_b32 s20, s36, s60                                // 000000007494: 85143C24
	v_readlane_b32 s82, v3, 3                                  // 000000007498: D2890052 00010703
	s_and_b32 s82, s82, 0xffffff                               // 0000000074A0: 8652FF52 00FFFFFF
	s_cmp_lt_u32 s82, s66                                      // 0000000074A8: BF0A4252
	s_cselect_b32 s21, s36, s60                                // 0000000074AC: 85153C24
	s_mov_b64 exec, s[20:21]                                   // 0000000074B0: BEFE0114
	global_atomic_add_f32 v6, v95, s[8:9] offset:8             // 0000000074B4: DD348008 00085F06
	s_mov_b64 exec, s[36:37]                                   // 0000000074BC: BEFE0124
	v_mov_b32_e32 v6, v70                                      // 0000000074C0: 7E0C0346
	s_mov_b64 s[60:61], 0                                      // 0000000074C4: BEBC0180
	v_readlane_b32 s82, v3, 4                                  // 0000000074C8: D2890052 00010903
	s_and_b32 s82, s82, 0xffffff                               // 0000000074D0: 8652FF52 00FFFFFF
	s_cmp_lt_u32 s82, s66                                      // 0000000074D8: BF0A4252
	s_cselect_b32 s20, s36, s60                                // 0000000074DC: 85143C24
	v_readlane_b32 s82, v3, 5                                  // 0000000074E0: D2890052 00010B03
	s_and_b32 s82, s82, 0xffffff                               // 0000000074E8: 8652FF52 00FFFFFF
	s_cmp_lt_u32 s82, s66                                      // 0000000074F0: BF0A4252
	s_cselect_b32 s21, s36, s60                                // 0000000074F4: 85153C24
	s_mov_b64 exec, s[20:21]                                   // 0000000074F8: BEFE0114
	global_atomic_add_f32 v6, v98, s[8:9] offset:8             // 0000000074FC: DD348008 00086206
	s_mov_b64 exec, s[36:37]                                   // 000000007504: BEFE0124
	v_mov_b32_e32 v6, v71                                      // 000000007508: 7E0C0347
	s_mov_b64 s[60:61], 0                                      // 00000000750C: BEBC0180
	v_readlane_b32 s82, v3, 6                                  // 000000007510: D2890052 00010D03
	s_and_b32 s82, s82, 0xffffff                               // 000000007518: 8652FF52 00FFFFFF
	s_cmp_lt_u32 s82, s66                                      // 000000007520: BF0A4252
	s_cselect_b32 s20, s36, s60                                // 000000007524: 85143C24
	v_readlane_b32 s82, v3, 7                                  // 000000007528: D2890052 00010F03
	s_and_b32 s82, s82, 0xffffff                               // 000000007530: 8652FF52 00FFFFFF
	s_cmp_lt_u32 s82, s66                                      // 000000007538: BF0A4252
	s_cselect_b32 s21, s36, s60                                // 00000000753C: 85153C24
	s_mov_b64 exec, s[20:21]                                   // 000000007540: BEFE0114
	global_atomic_add_f32 v6, v99, s[8:9] offset:8             // 000000007544: DD348008 00086306
	s_mov_b64 exec, s[36:37]                                   // 00000000754C: BEFE0124
	v_mov_b32_e32 v6, v72                                      // 000000007550: 7E0C0348
	s_mov_b64 s[60:61], 0                                      // 000000007554: BEBC0180
	v_readlane_b32 s82, v3, 8                                  // 000000007558: D2890052 00011103
	s_and_b32 s82, s82, 0xffffff                               // 000000007560: 8652FF52 00FFFFFF
	s_cmp_lt_u32 s82, s66                                      // 000000007568: BF0A4252
	s_cselect_b32 s20, s36, s60                                // 00000000756C: 85143C24
	v_readlane_b32 s82, v3, 9                                  // 000000007570: D2890052 00011303
	s_and_b32 s82, s82, 0xffffff                               // 000000007578: 8652FF52 00FFFFFF
	s_cmp_lt_u32 s82, s66                                      // 000000007580: BF0A4252
	s_cselect_b32 s21, s36, s60                                // 000000007584: 85153C24
	s_mov_b64 exec, s[20:21]                                   // 000000007588: BEFE0114
	global_atomic_add_f32 v6, v102, s[8:9] offset:8            // 00000000758C: DD348008 00086606
	s_mov_b64 exec, s[36:37]                                   // 000000007594: BEFE0124
	v_mov_b32_e32 v6, v73                                      // 000000007598: 7E0C0349
	s_mov_b64 s[60:61], 0                                      // 00000000759C: BEBC0180
	v_readlane_b32 s82, v3, 10                                 // 0000000075A0: D2890052 00011503
	s_and_b32 s82, s82, 0xffffff                               // 0000000075A8: 8652FF52 00FFFFFF
	s_cmp_lt_u32 s82, s66                                      // 0000000075B0: BF0A4252
	s_cselect_b32 s20, s36, s60                                // 0000000075B4: 85143C24
	v_readlane_b32 s82, v3, 11                                 // 0000000075B8: D2890052 00011703
	s_and_b32 s82, s82, 0xffffff                               // 0000000075C0: 8652FF52 00FFFFFF
	s_cmp_lt_u32 s82, s66                                      // 0000000075C8: BF0A4252
	s_cselect_b32 s21, s36, s60                                // 0000000075CC: 85153C24
	s_mov_b64 exec, s[20:21]                                   // 0000000075D0: BEFE0114
	global_atomic_add_f32 v6, v103, s[8:9] offset:8            // 0000000075D4: DD348008 00086706
	s_mov_b64 exec, s[36:37]                                   // 0000000075DC: BEFE0124
	v_mov_b32_e32 v6, v74                                      // 0000000075E0: 7E0C034A
	s_mov_b64 s[60:61], 0                                      // 0000000075E4: BEBC0180
	v_readlane_b32 s82, v3, 12                                 // 0000000075E8: D2890052 00011903
	s_and_b32 s82, s82, 0xffffff                               // 0000000075F0: 8652FF52 00FFFFFF
	s_cmp_lt_u32 s82, s66                                      // 0000000075F8: BF0A4252
	s_cselect_b32 s20, s36, s60                                // 0000000075FC: 85143C24
	v_readlane_b32 s82, v3, 13                                 // 000000007600: D2890052 00011B03
	s_and_b32 s82, s82, 0xffffff                               // 000000007608: 8652FF52 00FFFFFF
	s_cmp_lt_u32 s82, s66                                      // 000000007610: BF0A4252
	s_cselect_b32 s21, s36, s60                                // 000000007614: 85153C24
	s_mov_b64 exec, s[20:21]                                   // 000000007618: BEFE0114
	global_atomic_add_f32 v6, v106, s[8:9] offset:8            // 00000000761C: DD348008 00086A06
	s_mov_b64 exec, s[36:37]                                   // 000000007624: BEFE0124
	v_mov_b32_e32 v6, v75                                      // 000000007628: 7E0C034B
	s_mov_b64 s[60:61], 0                                      // 00000000762C: BEBC0180
	v_readlane_b32 s82, v3, 14                                 // 000000007630: D2890052 00011D03
	s_and_b32 s82, s82, 0xffffff                               // 000000007638: 8652FF52 00FFFFFF
	s_cmp_lt_u32 s82, s66                                      // 000000007640: BF0A4252
	s_cselect_b32 s20, s36, s60                                // 000000007644: 85143C24
	v_readlane_b32 s82, v3, 15                                 // 000000007648: D2890052 00011F03
	s_and_b32 s82, s82, 0xffffff                               // 000000007650: 8652FF52 00FFFFFF
	s_cmp_lt_u32 s82, s66                                      // 000000007658: BF0A4252
	s_cselect_b32 s21, s36, s60                                // 00000000765C: 85153C24
	s_mov_b64 exec, s[20:21]                                   // 000000007660: BEFE0114
	global_atomic_add_f32 v6, v107, s[8:9] offset:8            // 000000007664: DD348008 00086B06
	s_mov_b64 exec, s[36:37]                                   // 00000000766C: BEFE0124
	v_mov_b32_e32 v6, v76                                      // 000000007670: 7E0C034C
	s_mov_b64 s[60:61], 0                                      // 000000007674: BEBC0180
	v_readlane_b32 s82, v3, 16                                 // 000000007678: D2890052 00012103
	s_and_b32 s82, s82, 0xffffff                               // 000000007680: 8652FF52 00FFFFFF
	s_cmp_lt_u32 s82, s66                                      // 000000007688: BF0A4252
	s_cselect_b32 s20, s36, s60                                // 00000000768C: 85143C24
	v_readlane_b32 s82, v3, 17                                 // 000000007690: D2890052 00012303
	s_and_b32 s82, s82, 0xffffff                               // 000000007698: 8652FF52 00FFFFFF
	s_cmp_lt_u32 s82, s66                                      // 0000000076A0: BF0A4252
	s_cselect_b32 s21, s36, s60                                // 0000000076A4: 85153C24
	s_mov_b64 exec, s[20:21]                                   // 0000000076A8: BEFE0114
	global_atomic_add_f32 v6, v110, s[8:9] offset:8            // 0000000076AC: DD348008 00086E06
	s_mov_b64 exec, s[36:37]                                   // 0000000076B4: BEFE0124
	v_mov_b32_e32 v6, v77                                      // 0000000076B8: 7E0C034D
	s_mov_b64 s[60:61], 0                                      // 0000000076BC: BEBC0180
	v_readlane_b32 s82, v3, 18                                 // 0000000076C0: D2890052 00012503
	s_and_b32 s82, s82, 0xffffff                               // 0000000076C8: 8652FF52 00FFFFFF
	s_cmp_lt_u32 s82, s66                                      // 0000000076D0: BF0A4252
	s_cselect_b32 s20, s36, s60                                // 0000000076D4: 85143C24
	v_readlane_b32 s82, v3, 19                                 // 0000000076D8: D2890052 00012703
	s_and_b32 s82, s82, 0xffffff                               // 0000000076E0: 8652FF52 00FFFFFF
	s_cmp_lt_u32 s82, s66                                      // 0000000076E8: BF0A4252
	s_cselect_b32 s21, s36, s60                                // 0000000076EC: 85153C24
	s_mov_b64 exec, s[20:21]                                   // 0000000076F0: BEFE0114
	global_atomic_add_f32 v6, v111, s[8:9] offset:8            // 0000000076F4: DD348008 00086F06
	s_mov_b64 exec, s[36:37]                                   // 0000000076FC: BEFE0124
	v_mov_b32_e32 v6, v78                                      // 000000007700: 7E0C034E
	s_mov_b64 s[60:61], 0                                      // 000000007704: BEBC0180
	v_readlane_b32 s82, v3, 20                                 // 000000007708: D2890052 00012903
	s_and_b32 s82, s82, 0xffffff                               // 000000007710: 8652FF52 00FFFFFF
	s_cmp_lt_u32 s82, s66                                      // 000000007718: BF0A4252
	s_cselect_b32 s20, s36, s60                                // 00000000771C: 85143C24
	v_readlane_b32 s82, v3, 21                                 // 000000007720: D2890052 00012B03
	s_and_b32 s82, s82, 0xffffff                               // 000000007728: 8652FF52 00FFFFFF
	s_cmp_lt_u32 s82, s66                                      // 000000007730: BF0A4252
	s_cselect_b32 s21, s36, s60                                // 000000007734: 85153C24
	s_mov_b64 exec, s[20:21]                                   // 000000007738: BEFE0114
	global_atomic_add_f32 v6, v114, s[8:9] offset:8            // 00000000773C: DD348008 00087206
	s_mov_b64 exec, s[36:37]                                   // 000000007744: BEFE0124
	v_mov_b32_e32 v6, v79                                      // 000000007748: 7E0C034F
	s_mov_b64 s[60:61], 0                                      // 00000000774C: BEBC0180
	v_readlane_b32 s82, v3, 22                                 // 000000007750: D2890052 00012D03
	s_and_b32 s82, s82, 0xffffff                               // 000000007758: 8652FF52 00FFFFFF
	s_cmp_lt_u32 s82, s66                                      // 000000007760: BF0A4252
	s_cselect_b32 s20, s36, s60                                // 000000007764: 85143C24
	v_readlane_b32 s82, v3, 23                                 // 000000007768: D2890052 00012F03
	s_and_b32 s82, s82, 0xffffff                               // 000000007770: 8652FF52 00FFFFFF
	s_cmp_lt_u32 s82, s66                                      // 000000007778: BF0A4252
	s_cselect_b32 s21, s36, s60                                // 00000000777C: 85153C24
	s_mov_b64 exec, s[20:21]                                   // 000000007780: BEFE0114
	global_atomic_add_f32 v6, v115, s[8:9] offset:8            // 000000007784: DD348008 00087306
	s_mov_b64 exec, s[36:37]                                   // 00000000778C: BEFE0124
	v_mov_b32_e32 v6, v80                                      // 000000007790: 7E0C0350
	s_mov_b64 s[60:61], 0                                      // 000000007794: BEBC0180
	v_readlane_b32 s82, v3, 24                                 // 000000007798: D2890052 00013103
	s_and_b32 s82, s82, 0xffffff                               // 0000000077A0: 8652FF52 00FFFFFF
	s_cmp_lt_u32 s82, s66                                      // 0000000077A8: BF0A4252
	s_cselect_b32 s20, s36, s60                                // 0000000077AC: 85143C24
	v_readlane_b32 s82, v3, 25                                 // 0000000077B0: D2890052 00013303
	s_and_b32 s82, s82, 0xffffff                               // 0000000077B8: 8652FF52 00FFFFFF
	s_cmp_lt_u32 s82, s66                                      // 0000000077C0: BF0A4252
	s_cselect_b32 s21, s36, s60                                // 0000000077C4: 85153C24
	s_mov_b64 exec, s[20:21]                                   // 0000000077C8: BEFE0114
	global_atomic_add_f32 v6, v118, s[8:9] offset:8            // 0000000077CC: DD348008 00087606
	s_mov_b64 exec, s[36:37]                                   // 0000000077D4: BEFE0124
	v_mov_b32_e32 v6, v81                                      // 0000000077D8: 7E0C0351
	s_mov_b64 s[60:61], 0                                      // 0000000077DC: BEBC0180
	v_readlane_b32 s82, v3, 26                                 // 0000000077E0: D2890052 00013503
	s_and_b32 s82, s82, 0xffffff                               // 0000000077E8: 8652FF52 00FFFFFF
	s_cmp_lt_u32 s82, s66                                      // 0000000077F0: BF0A4252
	s_cselect_b32 s20, s36, s60                                // 0000000077F4: 85143C24
	v_readlane_b32 s82, v3, 27                                 // 0000000077F8: D2890052 00013703
	s_and_b32 s82, s82, 0xffffff                               // 000000007800: 8652FF52 00FFFFFF
	s_cmp_lt_u32 s82, s66                                      // 000000007808: BF0A4252
	s_cselect_b32 s21, s36, s60                                // 00000000780C: 85153C24
	s_mov_b64 exec, s[20:21]                                   // 000000007810: BEFE0114
	global_atomic_add_f32 v6, v119, s[8:9] offset:8            // 000000007814: DD348008 00087706
	s_mov_b64 exec, s[36:37]                                   // 00000000781C: BEFE0124
	v_mov_b32_e32 v6, v82                                      // 000000007820: 7E0C0352
	s_mov_b64 s[60:61], 0                                      // 000000007824: BEBC0180
	v_readlane_b32 s82, v3, 28                                 // 000000007828: D2890052 00013903
	s_and_b32 s82, s82, 0xffffff                               // 000000007830: 8652FF52 00FFFFFF
	s_cmp_lt_u32 s82, s66                                      // 000000007838: BF0A4252
	s_cselect_b32 s20, s36, s60                                // 00000000783C: 85143C24
	v_readlane_b32 s82, v3, 29                                 // 000000007840: D2890052 00013B03
	s_and_b32 s82, s82, 0xffffff                               // 000000007848: 8652FF52 00FFFFFF
	s_cmp_lt_u32 s82, s66                                      // 000000007850: BF0A4252
	s_cselect_b32 s21, s36, s60                                // 000000007854: 85153C24
	s_mov_b64 exec, s[20:21]                                   // 000000007858: BEFE0114
	global_atomic_add_f32 v6, v122, s[8:9] offset:8            // 00000000785C: DD348008 00087A06
	s_mov_b64 exec, s[36:37]                                   // 000000007864: BEFE0124
	v_mov_b32_e32 v6, v83                                      // 000000007868: 7E0C0353
	s_mov_b64 s[60:61], 0                                      // 00000000786C: BEBC0180
	v_readlane_b32 s82, v3, 30                                 // 000000007870: D2890052 00013D03
	s_and_b32 s82, s82, 0xffffff                               // 000000007878: 8652FF52 00FFFFFF
	s_cmp_lt_u32 s82, s66                                      // 000000007880: BF0A4252
	s_cselect_b32 s20, s36, s60                                // 000000007884: 85143C24
	v_readlane_b32 s82, v3, 31                                 // 000000007888: D2890052 00013F03
	s_and_b32 s82, s82, 0xffffff                               // 000000007890: 8652FF52 00FFFFFF
	s_cmp_lt_u32 s82, s66                                      // 000000007898: BF0A4252
	s_cselect_b32 s21, s36, s60                                // 00000000789C: 85153C24
	s_mov_b64 exec, s[20:21]                                   // 0000000078A0: BEFE0114
	global_atomic_add_f32 v6, v123, s[8:9] offset:8            // 0000000078A4: DD348008 00087B06
	s_mov_b64 exec, s[36:37]                                   // 0000000078AC: BEFE0124
	v_mov_b32_e32 v6, v84                                      // 0000000078B0: 7E0C0354
	s_mov_b64 s[60:61], 0                                      // 0000000078B4: BEBC0180
	v_readlane_b32 s82, v3, 32                                 // 0000000078B8: D2890052 00014103
	s_and_b32 s82, s82, 0xffffff                               // 0000000078C0: 8652FF52 00FFFFFF
	s_cmp_lt_u32 s82, s66                                      // 0000000078C8: BF0A4252
	s_cselect_b32 s20, s36, s60                                // 0000000078CC: 85143C24
	v_readlane_b32 s82, v3, 33                                 // 0000000078D0: D2890052 00014303
	s_and_b32 s82, s82, 0xffffff                               // 0000000078D8: 8652FF52 00FFFFFF
	s_cmp_lt_u32 s82, s66                                      // 0000000078E0: BF0A4252
	s_cselect_b32 s21, s36, s60                                // 0000000078E4: 85153C24
	s_mov_b64 exec, s[20:21]                                   // 0000000078E8: BEFE0114
	global_atomic_add_f32 v6, v126, s[8:9] offset:8            // 0000000078EC: DD348008 00087E06
	s_mov_b64 exec, s[36:37]                                   // 0000000078F4: BEFE0124
	v_mov_b32_e32 v6, v85                                      // 0000000078F8: 7E0C0355
	s_mov_b64 s[60:61], 0                                      // 0000000078FC: BEBC0180
	v_readlane_b32 s82, v3, 34                                 // 000000007900: D2890052 00014503
	s_and_b32 s82, s82, 0xffffff                               // 000000007908: 8652FF52 00FFFFFF
	s_cmp_lt_u32 s82, s66                                      // 000000007910: BF0A4252
	s_cselect_b32 s20, s36, s60                                // 000000007914: 85143C24
	v_readlane_b32 s82, v3, 35                                 // 000000007918: D2890052 00014703
	s_and_b32 s82, s82, 0xffffff                               // 000000007920: 8652FF52 00FFFFFF
	s_cmp_lt_u32 s82, s66                                      // 000000007928: BF0A4252
	s_cselect_b32 s21, s36, s60                                // 00000000792C: 85153C24
	s_mov_b64 exec, s[20:21]                                   // 000000007930: BEFE0114
	global_atomic_add_f32 v6, v127, s[8:9] offset:8            // 000000007934: DD348008 00087F06
	s_mov_b64 exec, s[36:37]                                   // 00000000793C: BEFE0124
	v_mov_b32_e32 v6, v86                                      // 000000007940: 7E0C0356
	s_mov_b64 s[60:61], 0                                      // 000000007944: BEBC0180
	v_readlane_b32 s82, v3, 36                                 // 000000007948: D2890052 00014903
	s_and_b32 s82, s82, 0xffffff                               // 000000007950: 8652FF52 00FFFFFF
	s_cmp_lt_u32 s82, s66                                      // 000000007958: BF0A4252
	s_cselect_b32 s20, s36, s60                                // 00000000795C: 85143C24
	v_readlane_b32 s82, v3, 37                                 // 000000007960: D2890052 00014B03
	s_and_b32 s82, s82, 0xffffff                               // 000000007968: 8652FF52 00FFFFFF
	s_cmp_lt_u32 s82, s66                                      // 000000007970: BF0A4252
	s_cselect_b32 s21, s36, s60                                // 000000007974: 85153C24
	s_mov_b64 exec, s[20:21]                                   // 000000007978: BEFE0114
	global_atomic_add_f32 v6, v130, s[8:9] offset:8            // 00000000797C: DD348008 00088206
	s_mov_b64 exec, s[36:37]                                   // 000000007984: BEFE0124
	v_mov_b32_e32 v6, v87                                      // 000000007988: 7E0C0357
	s_mov_b64 s[60:61], 0                                      // 00000000798C: BEBC0180
	v_readlane_b32 s82, v3, 38                                 // 000000007990: D2890052 00014D03
	s_and_b32 s82, s82, 0xffffff                               // 000000007998: 8652FF52 00FFFFFF
	s_cmp_lt_u32 s82, s66                                      // 0000000079A0: BF0A4252
	s_cselect_b32 s20, s36, s60                                // 0000000079A4: 85143C24
	v_readlane_b32 s82, v3, 39                                 // 0000000079A8: D2890052 00014F03
	s_and_b32 s82, s82, 0xffffff                               // 0000000079B0: 8652FF52 00FFFFFF
	s_cmp_lt_u32 s82, s66                                      // 0000000079B8: BF0A4252
	s_cselect_b32 s21, s36, s60                                // 0000000079BC: 85153C24
	s_mov_b64 exec, s[20:21]                                   // 0000000079C0: BEFE0114
	global_atomic_add_f32 v6, v131, s[8:9] offset:8            // 0000000079C4: DD348008 00088306
	s_mov_b64 exec, s[36:37]                                   // 0000000079CC: BEFE0124
	ds_write_b64 v20, v[132:133]                               // 0000000079D0: D89A0000 00008414
	ds_write_b64 v20, v[136:137] offset:2176                   // 0000000079D8: D89A0880 00008814
	ds_write_b64 v20, v[140:141] offset:4352                   // 0000000079E0: D89A1100 00008C14
	ds_write_b64 v20, v[144:145] offset:6528                   // 0000000079E8: D89A1980 00009014
	ds_write_b64 v20, v[148:149] offset:8704                   // 0000000079F0: D89A2200 00009414
	ds_write_b64 v20, v[152:153] offset:10880                  // 0000000079F8: D89A2A80 00009814
	ds_write_b64 v20, v[156:157] offset:13056                  // 000000007A00: D89A3300 00009C14
	ds_write_b64 v20, v[160:161] offset:15232                  // 000000007A08: D89A3B80 0000A014
	ds_write_b64 v20, v[164:165] offset:17408                  // 000000007A10: D89A4400 0000A414
	ds_write_b64 v20, v[168:169] offset:19584                  // 000000007A18: D89A4C80 0000A814
	s_waitcnt lgkmcnt(0)                                       // 000000007A20: BF8CC07F
	s_barrier                                                  // 000000007A24: BF8A0000
	ds_read_b32 v132, v21                                      // 000000007A28: D86C0000 84000015
	ds_read_b32 v133, v21 offset:64                            // 000000007A30: D86C0040 85000015
	ds_read_b32 v136, v21 offset:2176                          // 000000007A38: D86C0880 88000015
	ds_read_b32 v137, v21 offset:2240                          // 000000007A40: D86C08C0 89000015
	ds_read_b32 v140, v21 offset:4352                          // 000000007A48: D86C1100 8C000015
	ds_read_b32 v141, v21 offset:4416                          // 000000007A50: D86C1140 8D000015
	ds_read_b32 v144, v21 offset:6528                          // 000000007A58: D86C1980 90000015
	ds_read_b32 v145, v21 offset:6592                          // 000000007A60: D86C19C0 91000015
	ds_read_b32 v148, v21 offset:8704                          // 000000007A68: D86C2200 94000015
	ds_read_b32 v149, v21 offset:8768                          // 000000007A70: D86C2240 95000015
	ds_read_b32 v152, v21 offset:10880                         // 000000007A78: D86C2A80 98000015
	ds_read_b32 v153, v21 offset:10944                         // 000000007A80: D86C2AC0 99000015
	ds_read_b32 v156, v21 offset:13056                         // 000000007A88: D86C3300 9C000015
	ds_read_b32 v157, v21 offset:13120                         // 000000007A90: D86C3340 9D000015
	ds_read_b32 v160, v21 offset:15232                         // 000000007A98: D86C3B80 A0000015
	ds_read_b32 v161, v21 offset:15296                         // 000000007AA0: D86C3BC0 A1000015
	ds_read_b32 v164, v21 offset:17408                         // 000000007AA8: D86C4400 A4000015
	ds_read_b32 v165, v21 offset:17472                         // 000000007AB0: D86C4440 A5000015
	ds_read_b32 v168, v21 offset:19584                         // 000000007AB8: D86C4C80 A8000015
	ds_read_b32 v169, v21 offset:19648                         // 000000007AC0: D86C4CC0 A9000015
	s_mul_i32 s60, s65, 4                                      // 000000007AC8: 923C8441
	s_add_u32 s8, s60, s8                                      // 000000007ACC: 8008083C
	s_addc_u32 s9, 0, s9                                       // 000000007AD0: 82090980
	s_waitcnt lgkmcnt(0)                                       // 000000007AD4: BF8CC07F
	v_mov_b32_e32 v7, 0                                        // 000000007AD8: 7E0E0280
	s_mov_b64 exec, s[36:37]                                   // 000000007ADC: BEFE0124
	v_mov_b32_e32 v6, v68                                      // 000000007AE0: 7E0C0344
	s_mov_b64 s[60:61], 0                                      // 000000007AE4: BEBC0180
	v_readlane_b32 s82, v3, 0                                  // 000000007AE8: D2890052 00010103
	s_and_b32 s82, s82, 0xffffff                               // 000000007AF0: 8652FF52 00FFFFFF
	s_cmp_lt_u32 s82, s66                                      // 000000007AF8: BF0A4252
	s_cselect_b32 s20, s36, s60                                // 000000007AFC: 85143C24
	v_readlane_b32 s82, v3, 1                                  // 000000007B00: D2890052 00010303
	s_and_b32 s82, s82, 0xffffff                               // 000000007B08: 8652FF52 00FFFFFF
	s_cmp_lt_u32 s82, s66                                      // 000000007B10: BF0A4252
	s_cselect_b32 s21, s36, s60                                // 000000007B14: 85153C24
	s_mov_b64 exec, s[20:21]                                   // 000000007B18: BEFE0114
	global_atomic_add_f32 v6, v132, s[8:9]                     // 000000007B1C: DD348000 00088406
	s_mov_b64 exec, s[36:37]                                   // 000000007B24: BEFE0124
	v_mov_b32_e32 v6, v69                                      // 000000007B28: 7E0C0345
	s_mov_b64 s[60:61], 0                                      // 000000007B2C: BEBC0180
	v_readlane_b32 s82, v3, 2                                  // 000000007B30: D2890052 00010503
	s_and_b32 s82, s82, 0xffffff                               // 000000007B38: 8652FF52 00FFFFFF
	s_cmp_lt_u32 s82, s66                                      // 000000007B40: BF0A4252
	s_cselect_b32 s20, s36, s60                                // 000000007B44: 85143C24
	v_readlane_b32 s82, v3, 3                                  // 000000007B48: D2890052 00010703
	s_and_b32 s82, s82, 0xffffff                               // 000000007B50: 8652FF52 00FFFFFF
	s_cmp_lt_u32 s82, s66                                      // 000000007B58: BF0A4252
	s_cselect_b32 s21, s36, s60                                // 000000007B5C: 85153C24
	s_mov_b64 exec, s[20:21]                                   // 000000007B60: BEFE0114
	global_atomic_add_f32 v6, v133, s[8:9]                     // 000000007B64: DD348000 00088506
	s_mov_b64 exec, s[36:37]                                   // 000000007B6C: BEFE0124
	v_mov_b32_e32 v6, v70                                      // 000000007B70: 7E0C0346
	s_mov_b64 s[60:61], 0                                      // 000000007B74: BEBC0180
	v_readlane_b32 s82, v3, 4                                  // 000000007B78: D2890052 00010903
	s_and_b32 s82, s82, 0xffffff                               // 000000007B80: 8652FF52 00FFFFFF
	s_cmp_lt_u32 s82, s66                                      // 000000007B88: BF0A4252
	s_cselect_b32 s20, s36, s60                                // 000000007B8C: 85143C24
	v_readlane_b32 s82, v3, 5                                  // 000000007B90: D2890052 00010B03
	s_and_b32 s82, s82, 0xffffff                               // 000000007B98: 8652FF52 00FFFFFF
	s_cmp_lt_u32 s82, s66                                      // 000000007BA0: BF0A4252
	s_cselect_b32 s21, s36, s60                                // 000000007BA4: 85153C24
	s_mov_b64 exec, s[20:21]                                   // 000000007BA8: BEFE0114
	global_atomic_add_f32 v6, v136, s[8:9]                     // 000000007BAC: DD348000 00088806
	s_mov_b64 exec, s[36:37]                                   // 000000007BB4: BEFE0124
	v_mov_b32_e32 v6, v71                                      // 000000007BB8: 7E0C0347
	s_mov_b64 s[60:61], 0                                      // 000000007BBC: BEBC0180
	v_readlane_b32 s82, v3, 6                                  // 000000007BC0: D2890052 00010D03
	s_and_b32 s82, s82, 0xffffff                               // 000000007BC8: 8652FF52 00FFFFFF
	s_cmp_lt_u32 s82, s66                                      // 000000007BD0: BF0A4252
	s_cselect_b32 s20, s36, s60                                // 000000007BD4: 85143C24
	v_readlane_b32 s82, v3, 7                                  // 000000007BD8: D2890052 00010F03
	s_and_b32 s82, s82, 0xffffff                               // 000000007BE0: 8652FF52 00FFFFFF
	s_cmp_lt_u32 s82, s66                                      // 000000007BE8: BF0A4252
	s_cselect_b32 s21, s36, s60                                // 000000007BEC: 85153C24
	s_mov_b64 exec, s[20:21]                                   // 000000007BF0: BEFE0114
	global_atomic_add_f32 v6, v137, s[8:9]                     // 000000007BF4: DD348000 00088906
	s_mov_b64 exec, s[36:37]                                   // 000000007BFC: BEFE0124
	v_mov_b32_e32 v6, v72                                      // 000000007C00: 7E0C0348
	s_mov_b64 s[60:61], 0                                      // 000000007C04: BEBC0180
	v_readlane_b32 s82, v3, 8                                  // 000000007C08: D2890052 00011103
	s_and_b32 s82, s82, 0xffffff                               // 000000007C10: 8652FF52 00FFFFFF
	s_cmp_lt_u32 s82, s66                                      // 000000007C18: BF0A4252
	s_cselect_b32 s20, s36, s60                                // 000000007C1C: 85143C24
	v_readlane_b32 s82, v3, 9                                  // 000000007C20: D2890052 00011303
	s_and_b32 s82, s82, 0xffffff                               // 000000007C28: 8652FF52 00FFFFFF
	s_cmp_lt_u32 s82, s66                                      // 000000007C30: BF0A4252
	s_cselect_b32 s21, s36, s60                                // 000000007C34: 85153C24
	s_mov_b64 exec, s[20:21]                                   // 000000007C38: BEFE0114
	global_atomic_add_f32 v6, v140, s[8:9]                     // 000000007C3C: DD348000 00088C06
	s_mov_b64 exec, s[36:37]                                   // 000000007C44: BEFE0124
	v_mov_b32_e32 v6, v73                                      // 000000007C48: 7E0C0349
	s_mov_b64 s[60:61], 0                                      // 000000007C4C: BEBC0180
	v_readlane_b32 s82, v3, 10                                 // 000000007C50: D2890052 00011503
	s_and_b32 s82, s82, 0xffffff                               // 000000007C58: 8652FF52 00FFFFFF
	s_cmp_lt_u32 s82, s66                                      // 000000007C60: BF0A4252
	s_cselect_b32 s20, s36, s60                                // 000000007C64: 85143C24
	v_readlane_b32 s82, v3, 11                                 // 000000007C68: D2890052 00011703
	s_and_b32 s82, s82, 0xffffff                               // 000000007C70: 8652FF52 00FFFFFF
	s_cmp_lt_u32 s82, s66                                      // 000000007C78: BF0A4252
	s_cselect_b32 s21, s36, s60                                // 000000007C7C: 85153C24
	s_mov_b64 exec, s[20:21]                                   // 000000007C80: BEFE0114
	global_atomic_add_f32 v6, v141, s[8:9]                     // 000000007C84: DD348000 00088D06
	s_mov_b64 exec, s[36:37]                                   // 000000007C8C: BEFE0124
	v_mov_b32_e32 v6, v74                                      // 000000007C90: 7E0C034A
	s_mov_b64 s[60:61], 0                                      // 000000007C94: BEBC0180
	v_readlane_b32 s82, v3, 12                                 // 000000007C98: D2890052 00011903
	s_and_b32 s82, s82, 0xffffff                               // 000000007CA0: 8652FF52 00FFFFFF
	s_cmp_lt_u32 s82, s66                                      // 000000007CA8: BF0A4252
	s_cselect_b32 s20, s36, s60                                // 000000007CAC: 85143C24
	v_readlane_b32 s82, v3, 13                                 // 000000007CB0: D2890052 00011B03
	s_and_b32 s82, s82, 0xffffff                               // 000000007CB8: 8652FF52 00FFFFFF
	s_cmp_lt_u32 s82, s66                                      // 000000007CC0: BF0A4252
	s_cselect_b32 s21, s36, s60                                // 000000007CC4: 85153C24
	s_mov_b64 exec, s[20:21]                                   // 000000007CC8: BEFE0114
	global_atomic_add_f32 v6, v144, s[8:9]                     // 000000007CCC: DD348000 00089006
	s_mov_b64 exec, s[36:37]                                   // 000000007CD4: BEFE0124
	v_mov_b32_e32 v6, v75                                      // 000000007CD8: 7E0C034B
	s_mov_b64 s[60:61], 0                                      // 000000007CDC: BEBC0180
	v_readlane_b32 s82, v3, 14                                 // 000000007CE0: D2890052 00011D03
	s_and_b32 s82, s82, 0xffffff                               // 000000007CE8: 8652FF52 00FFFFFF
	s_cmp_lt_u32 s82, s66                                      // 000000007CF0: BF0A4252
	s_cselect_b32 s20, s36, s60                                // 000000007CF4: 85143C24
	v_readlane_b32 s82, v3, 15                                 // 000000007CF8: D2890052 00011F03
	s_and_b32 s82, s82, 0xffffff                               // 000000007D00: 8652FF52 00FFFFFF
	s_cmp_lt_u32 s82, s66                                      // 000000007D08: BF0A4252
	s_cselect_b32 s21, s36, s60                                // 000000007D0C: 85153C24
	s_mov_b64 exec, s[20:21]                                   // 000000007D10: BEFE0114
	global_atomic_add_f32 v6, v145, s[8:9]                     // 000000007D14: DD348000 00089106
	s_mov_b64 exec, s[36:37]                                   // 000000007D1C: BEFE0124
	v_mov_b32_e32 v6, v76                                      // 000000007D20: 7E0C034C
	s_mov_b64 s[60:61], 0                                      // 000000007D24: BEBC0180
	v_readlane_b32 s82, v3, 16                                 // 000000007D28: D2890052 00012103
	s_and_b32 s82, s82, 0xffffff                               // 000000007D30: 8652FF52 00FFFFFF
	s_cmp_lt_u32 s82, s66                                      // 000000007D38: BF0A4252
	s_cselect_b32 s20, s36, s60                                // 000000007D3C: 85143C24
	v_readlane_b32 s82, v3, 17                                 // 000000007D40: D2890052 00012303
	s_and_b32 s82, s82, 0xffffff                               // 000000007D48: 8652FF52 00FFFFFF
	s_cmp_lt_u32 s82, s66                                      // 000000007D50: BF0A4252
	s_cselect_b32 s21, s36, s60                                // 000000007D54: 85153C24
	s_mov_b64 exec, s[20:21]                                   // 000000007D58: BEFE0114
	global_atomic_add_f32 v6, v148, s[8:9]                     // 000000007D5C: DD348000 00089406
	s_mov_b64 exec, s[36:37]                                   // 000000007D64: BEFE0124
	v_mov_b32_e32 v6, v77                                      // 000000007D68: 7E0C034D
	s_mov_b64 s[60:61], 0                                      // 000000007D6C: BEBC0180
	v_readlane_b32 s82, v3, 18                                 // 000000007D70: D2890052 00012503
	s_and_b32 s82, s82, 0xffffff                               // 000000007D78: 8652FF52 00FFFFFF
	s_cmp_lt_u32 s82, s66                                      // 000000007D80: BF0A4252
	s_cselect_b32 s20, s36, s60                                // 000000007D84: 85143C24
	v_readlane_b32 s82, v3, 19                                 // 000000007D88: D2890052 00012703
	s_and_b32 s82, s82, 0xffffff                               // 000000007D90: 8652FF52 00FFFFFF
	s_cmp_lt_u32 s82, s66                                      // 000000007D98: BF0A4252
	s_cselect_b32 s21, s36, s60                                // 000000007D9C: 85153C24
	s_mov_b64 exec, s[20:21]                                   // 000000007DA0: BEFE0114
	global_atomic_add_f32 v6, v149, s[8:9]                     // 000000007DA4: DD348000 00089506
	s_mov_b64 exec, s[36:37]                                   // 000000007DAC: BEFE0124
	v_mov_b32_e32 v6, v78                                      // 000000007DB0: 7E0C034E
	s_mov_b64 s[60:61], 0                                      // 000000007DB4: BEBC0180
	v_readlane_b32 s82, v3, 20                                 // 000000007DB8: D2890052 00012903
	s_and_b32 s82, s82, 0xffffff                               // 000000007DC0: 8652FF52 00FFFFFF
	s_cmp_lt_u32 s82, s66                                      // 000000007DC8: BF0A4252
	s_cselect_b32 s20, s36, s60                                // 000000007DCC: 85143C24
	v_readlane_b32 s82, v3, 21                                 // 000000007DD0: D2890052 00012B03
	s_and_b32 s82, s82, 0xffffff                               // 000000007DD8: 8652FF52 00FFFFFF
	s_cmp_lt_u32 s82, s66                                      // 000000007DE0: BF0A4252
	s_cselect_b32 s21, s36, s60                                // 000000007DE4: 85153C24
	s_mov_b64 exec, s[20:21]                                   // 000000007DE8: BEFE0114
	global_atomic_add_f32 v6, v152, s[8:9]                     // 000000007DEC: DD348000 00089806
	s_mov_b64 exec, s[36:37]                                   // 000000007DF4: BEFE0124
	v_mov_b32_e32 v6, v79                                      // 000000007DF8: 7E0C034F
	s_mov_b64 s[60:61], 0                                      // 000000007DFC: BEBC0180
	v_readlane_b32 s82, v3, 22                                 // 000000007E00: D2890052 00012D03
	s_and_b32 s82, s82, 0xffffff                               // 000000007E08: 8652FF52 00FFFFFF
	s_cmp_lt_u32 s82, s66                                      // 000000007E10: BF0A4252
	s_cselect_b32 s20, s36, s60                                // 000000007E14: 85143C24
	v_readlane_b32 s82, v3, 23                                 // 000000007E18: D2890052 00012F03
	s_and_b32 s82, s82, 0xffffff                               // 000000007E20: 8652FF52 00FFFFFF
	s_cmp_lt_u32 s82, s66                                      // 000000007E28: BF0A4252
	s_cselect_b32 s21, s36, s60                                // 000000007E2C: 85153C24
	s_mov_b64 exec, s[20:21]                                   // 000000007E30: BEFE0114
	global_atomic_add_f32 v6, v153, s[8:9]                     // 000000007E34: DD348000 00089906
	s_mov_b64 exec, s[36:37]                                   // 000000007E3C: BEFE0124
	v_mov_b32_e32 v6, v80                                      // 000000007E40: 7E0C0350
	s_mov_b64 s[60:61], 0                                      // 000000007E44: BEBC0180
	v_readlane_b32 s82, v3, 24                                 // 000000007E48: D2890052 00013103
	s_and_b32 s82, s82, 0xffffff                               // 000000007E50: 8652FF52 00FFFFFF
	s_cmp_lt_u32 s82, s66                                      // 000000007E58: BF0A4252
	s_cselect_b32 s20, s36, s60                                // 000000007E5C: 85143C24
	v_readlane_b32 s82, v3, 25                                 // 000000007E60: D2890052 00013303
	s_and_b32 s82, s82, 0xffffff                               // 000000007E68: 8652FF52 00FFFFFF
	s_cmp_lt_u32 s82, s66                                      // 000000007E70: BF0A4252
	s_cselect_b32 s21, s36, s60                                // 000000007E74: 85153C24
	s_mov_b64 exec, s[20:21]                                   // 000000007E78: BEFE0114
	global_atomic_add_f32 v6, v156, s[8:9]                     // 000000007E7C: DD348000 00089C06
	s_mov_b64 exec, s[36:37]                                   // 000000007E84: BEFE0124
	v_mov_b32_e32 v6, v81                                      // 000000007E88: 7E0C0351
	s_mov_b64 s[60:61], 0                                      // 000000007E8C: BEBC0180
	v_readlane_b32 s82, v3, 26                                 // 000000007E90: D2890052 00013503
	s_and_b32 s82, s82, 0xffffff                               // 000000007E98: 8652FF52 00FFFFFF
	s_cmp_lt_u32 s82, s66                                      // 000000007EA0: BF0A4252
	s_cselect_b32 s20, s36, s60                                // 000000007EA4: 85143C24
	v_readlane_b32 s82, v3, 27                                 // 000000007EA8: D2890052 00013703
	s_and_b32 s82, s82, 0xffffff                               // 000000007EB0: 8652FF52 00FFFFFF
	s_cmp_lt_u32 s82, s66                                      // 000000007EB8: BF0A4252
	s_cselect_b32 s21, s36, s60                                // 000000007EBC: 85153C24
	s_mov_b64 exec, s[20:21]                                   // 000000007EC0: BEFE0114
	global_atomic_add_f32 v6, v157, s[8:9]                     // 000000007EC4: DD348000 00089D06
	s_mov_b64 exec, s[36:37]                                   // 000000007ECC: BEFE0124
	v_mov_b32_e32 v6, v82                                      // 000000007ED0: 7E0C0352
	s_mov_b64 s[60:61], 0                                      // 000000007ED4: BEBC0180
	v_readlane_b32 s82, v3, 28                                 // 000000007ED8: D2890052 00013903
	s_and_b32 s82, s82, 0xffffff                               // 000000007EE0: 8652FF52 00FFFFFF
	s_cmp_lt_u32 s82, s66                                      // 000000007EE8: BF0A4252
	s_cselect_b32 s20, s36, s60                                // 000000007EEC: 85143C24
	v_readlane_b32 s82, v3, 29                                 // 000000007EF0: D2890052 00013B03
	s_and_b32 s82, s82, 0xffffff                               // 000000007EF8: 8652FF52 00FFFFFF
	s_cmp_lt_u32 s82, s66                                      // 000000007F00: BF0A4252
	s_cselect_b32 s21, s36, s60                                // 000000007F04: 85153C24
	s_mov_b64 exec, s[20:21]                                   // 000000007F08: BEFE0114
	global_atomic_add_f32 v6, v160, s[8:9]                     // 000000007F0C: DD348000 0008A006
	s_mov_b64 exec, s[36:37]                                   // 000000007F14: BEFE0124
	v_mov_b32_e32 v6, v83                                      // 000000007F18: 7E0C0353
	s_mov_b64 s[60:61], 0                                      // 000000007F1C: BEBC0180
	v_readlane_b32 s82, v3, 30                                 // 000000007F20: D2890052 00013D03
	s_and_b32 s82, s82, 0xffffff                               // 000000007F28: 8652FF52 00FFFFFF
	s_cmp_lt_u32 s82, s66                                      // 000000007F30: BF0A4252
	s_cselect_b32 s20, s36, s60                                // 000000007F34: 85143C24
	v_readlane_b32 s82, v3, 31                                 // 000000007F38: D2890052 00013F03
	s_and_b32 s82, s82, 0xffffff                               // 000000007F40: 8652FF52 00FFFFFF
	s_cmp_lt_u32 s82, s66                                      // 000000007F48: BF0A4252
	s_cselect_b32 s21, s36, s60                                // 000000007F4C: 85153C24
	s_mov_b64 exec, s[20:21]                                   // 000000007F50: BEFE0114
	global_atomic_add_f32 v6, v161, s[8:9]                     // 000000007F54: DD348000 0008A106
	s_mov_b64 exec, s[36:37]                                   // 000000007F5C: BEFE0124
	v_mov_b32_e32 v6, v84                                      // 000000007F60: 7E0C0354
	s_mov_b64 s[60:61], 0                                      // 000000007F64: BEBC0180
	v_readlane_b32 s82, v3, 32                                 // 000000007F68: D2890052 00014103
	s_and_b32 s82, s82, 0xffffff                               // 000000007F70: 8652FF52 00FFFFFF
	s_cmp_lt_u32 s82, s66                                      // 000000007F78: BF0A4252
	s_cselect_b32 s20, s36, s60                                // 000000007F7C: 85143C24
	v_readlane_b32 s82, v3, 33                                 // 000000007F80: D2890052 00014303
	s_and_b32 s82, s82, 0xffffff                               // 000000007F88: 8652FF52 00FFFFFF
	s_cmp_lt_u32 s82, s66                                      // 000000007F90: BF0A4252
	s_cselect_b32 s21, s36, s60                                // 000000007F94: 85153C24
	s_mov_b64 exec, s[20:21]                                   // 000000007F98: BEFE0114
	global_atomic_add_f32 v6, v164, s[8:9]                     // 000000007F9C: DD348000 0008A406
	s_mov_b64 exec, s[36:37]                                   // 000000007FA4: BEFE0124
	v_mov_b32_e32 v6, v85                                      // 000000007FA8: 7E0C0355
	s_mov_b64 s[60:61], 0                                      // 000000007FAC: BEBC0180
	v_readlane_b32 s82, v3, 34                                 // 000000007FB0: D2890052 00014503
	s_and_b32 s82, s82, 0xffffff                               // 000000007FB8: 8652FF52 00FFFFFF
	s_cmp_lt_u32 s82, s66                                      // 000000007FC0: BF0A4252
	s_cselect_b32 s20, s36, s60                                // 000000007FC4: 85143C24
	v_readlane_b32 s82, v3, 35                                 // 000000007FC8: D2890052 00014703
	s_and_b32 s82, s82, 0xffffff                               // 000000007FD0: 8652FF52 00FFFFFF
	s_cmp_lt_u32 s82, s66                                      // 000000007FD8: BF0A4252
	s_cselect_b32 s21, s36, s60                                // 000000007FDC: 85153C24
	s_mov_b64 exec, s[20:21]                                   // 000000007FE0: BEFE0114
	global_atomic_add_f32 v6, v165, s[8:9]                     // 000000007FE4: DD348000 0008A506
	s_mov_b64 exec, s[36:37]                                   // 000000007FEC: BEFE0124
	v_mov_b32_e32 v6, v86                                      // 000000007FF0: 7E0C0356
	s_mov_b64 s[60:61], 0                                      // 000000007FF4: BEBC0180
	v_readlane_b32 s82, v3, 36                                 // 000000007FF8: D2890052 00014903
	s_and_b32 s82, s82, 0xffffff                               // 000000008000: 8652FF52 00FFFFFF
	s_cmp_lt_u32 s82, s66                                      // 000000008008: BF0A4252
	s_cselect_b32 s20, s36, s60                                // 00000000800C: 85143C24
	v_readlane_b32 s82, v3, 37                                 // 000000008010: D2890052 00014B03
	s_and_b32 s82, s82, 0xffffff                               // 000000008018: 8652FF52 00FFFFFF
	s_cmp_lt_u32 s82, s66                                      // 000000008020: BF0A4252
	s_cselect_b32 s21, s36, s60                                // 000000008024: 85153C24
	s_mov_b64 exec, s[20:21]                                   // 000000008028: BEFE0114
	global_atomic_add_f32 v6, v168, s[8:9]                     // 00000000802C: DD348000 0008A806
	s_mov_b64 exec, s[36:37]                                   // 000000008034: BEFE0124
	v_mov_b32_e32 v6, v87                                      // 000000008038: 7E0C0357
	s_mov_b64 s[60:61], 0                                      // 00000000803C: BEBC0180
	v_readlane_b32 s82, v3, 38                                 // 000000008040: D2890052 00014D03
	s_and_b32 s82, s82, 0xffffff                               // 000000008048: 8652FF52 00FFFFFF
	s_cmp_lt_u32 s82, s66                                      // 000000008050: BF0A4252
	s_cselect_b32 s20, s36, s60                                // 000000008054: 85143C24
	v_readlane_b32 s82, v3, 39                                 // 000000008058: D2890052 00014F03
	s_and_b32 s82, s82, 0xffffff                               // 000000008060: 8652FF52 00FFFFFF
	s_cmp_lt_u32 s82, s66                                      // 000000008068: BF0A4252
	s_cselect_b32 s21, s36, s60                                // 00000000806C: 85153C24
	s_mov_b64 exec, s[20:21]                                   // 000000008070: BEFE0114
	global_atomic_add_f32 v6, v169, s[8:9]                     // 000000008074: DD348000 0008A906
	s_mov_b64 exec, s[36:37]                                   // 00000000807C: BEFE0124
	ds_write_b64 v20, v[134:135]                               // 000000008080: D89A0000 00008614
	ds_write_b64 v20, v[138:139] offset:2176                   // 000000008088: D89A0880 00008A14
	ds_write_b64 v20, v[142:143] offset:4352                   // 000000008090: D89A1100 00008E14
	ds_write_b64 v20, v[146:147] offset:6528                   // 000000008098: D89A1980 00009214
	ds_write_b64 v20, v[150:151] offset:8704                   // 0000000080A0: D89A2200 00009614
	ds_write_b64 v20, v[154:155] offset:10880                  // 0000000080A8: D89A2A80 00009A14
	ds_write_b64 v20, v[158:159] offset:13056                  // 0000000080B0: D89A3300 00009E14
	ds_write_b64 v20, v[162:163] offset:15232                  // 0000000080B8: D89A3B80 0000A214
	ds_write_b64 v20, v[166:167] offset:17408                  // 0000000080C0: D89A4400 0000A614
	ds_write_b64 v20, v[170:171] offset:19584                  // 0000000080C8: D89A4C80 0000AA14
	s_waitcnt lgkmcnt(0)                                       // 0000000080D0: BF8CC07F
	s_barrier                                                  // 0000000080D4: BF8A0000
	ds_read_b32 v134, v21                                      // 0000000080D8: D86C0000 86000015
	ds_read_b32 v135, v21 offset:64                            // 0000000080E0: D86C0040 87000015
	ds_read_b32 v138, v21 offset:2176                          // 0000000080E8: D86C0880 8A000015
	ds_read_b32 v139, v21 offset:2240                          // 0000000080F0: D86C08C0 8B000015
	ds_read_b32 v142, v21 offset:4352                          // 0000000080F8: D86C1100 8E000015
	ds_read_b32 v143, v21 offset:4416                          // 000000008100: D86C1140 8F000015
	ds_read_b32 v146, v21 offset:6528                          // 000000008108: D86C1980 92000015
	ds_read_b32 v147, v21 offset:6592                          // 000000008110: D86C19C0 93000015
	ds_read_b32 v150, v21 offset:8704                          // 000000008118: D86C2200 96000015
	ds_read_b32 v151, v21 offset:8768                          // 000000008120: D86C2240 97000015
	ds_read_b32 v154, v21 offset:10880                         // 000000008128: D86C2A80 9A000015
	ds_read_b32 v155, v21 offset:10944                         // 000000008130: D86C2AC0 9B000015
	ds_read_b32 v158, v21 offset:13056                         // 000000008138: D86C3300 9E000015
	ds_read_b32 v159, v21 offset:13120                         // 000000008140: D86C3340 9F000015
	ds_read_b32 v162, v21 offset:15232                         // 000000008148: D86C3B80 A2000015
	ds_read_b32 v163, v21 offset:15296                         // 000000008150: D86C3BC0 A3000015
	ds_read_b32 v166, v21 offset:17408                         // 000000008158: D86C4400 A6000015
	ds_read_b32 v167, v21 offset:17472                         // 000000008160: D86C4440 A7000015
	ds_read_b32 v170, v21 offset:19584                         // 000000008168: D86C4C80 AA000015
	ds_read_b32 v171, v21 offset:19648                         // 000000008170: D86C4CC0 AB000015
	s_waitcnt lgkmcnt(0)                                       // 000000008178: BF8CC07F
	v_mov_b32_e32 v7, 0                                        // 00000000817C: 7E0E0280
	s_mov_b64 exec, s[36:37]                                   // 000000008180: BEFE0124
	v_mov_b32_e32 v6, v68                                      // 000000008184: 7E0C0344
	s_mov_b64 s[60:61], 0                                      // 000000008188: BEBC0180
	v_readlane_b32 s82, v3, 0                                  // 00000000818C: D2890052 00010103
	s_and_b32 s82, s82, 0xffffff                               // 000000008194: 8652FF52 00FFFFFF
	s_cmp_lt_u32 s82, s66                                      // 00000000819C: BF0A4252
	s_cselect_b32 s20, s36, s60                                // 0000000081A0: 85143C24
	v_readlane_b32 s82, v3, 1                                  // 0000000081A4: D2890052 00010303
	s_and_b32 s82, s82, 0xffffff                               // 0000000081AC: 8652FF52 00FFFFFF
	s_cmp_lt_u32 s82, s66                                      // 0000000081B4: BF0A4252
	s_cselect_b32 s21, s36, s60                                // 0000000081B8: 85153C24
	s_mov_b64 exec, s[20:21]                                   // 0000000081BC: BEFE0114
	global_atomic_add_f32 v6, v134, s[8:9] offset:8            // 0000000081C0: DD348008 00088606
	s_mov_b64 exec, s[36:37]                                   // 0000000081C8: BEFE0124
	v_mov_b32_e32 v6, v69                                      // 0000000081CC: 7E0C0345
	s_mov_b64 s[60:61], 0                                      // 0000000081D0: BEBC0180
	v_readlane_b32 s82, v3, 2                                  // 0000000081D4: D2890052 00010503
	s_and_b32 s82, s82, 0xffffff                               // 0000000081DC: 8652FF52 00FFFFFF
	s_cmp_lt_u32 s82, s66                                      // 0000000081E4: BF0A4252
	s_cselect_b32 s20, s36, s60                                // 0000000081E8: 85143C24
	v_readlane_b32 s82, v3, 3                                  // 0000000081EC: D2890052 00010703
	s_and_b32 s82, s82, 0xffffff                               // 0000000081F4: 8652FF52 00FFFFFF
	s_cmp_lt_u32 s82, s66                                      // 0000000081FC: BF0A4252
	s_cselect_b32 s21, s36, s60                                // 000000008200: 85153C24
	s_mov_b64 exec, s[20:21]                                   // 000000008204: BEFE0114
	global_atomic_add_f32 v6, v135, s[8:9] offset:8            // 000000008208: DD348008 00088706
	s_mov_b64 exec, s[36:37]                                   // 000000008210: BEFE0124
	v_mov_b32_e32 v6, v70                                      // 000000008214: 7E0C0346
	s_mov_b64 s[60:61], 0                                      // 000000008218: BEBC0180
	v_readlane_b32 s82, v3, 4                                  // 00000000821C: D2890052 00010903
	s_and_b32 s82, s82, 0xffffff                               // 000000008224: 8652FF52 00FFFFFF
	s_cmp_lt_u32 s82, s66                                      // 00000000822C: BF0A4252
	s_cselect_b32 s20, s36, s60                                // 000000008230: 85143C24
	v_readlane_b32 s82, v3, 5                                  // 000000008234: D2890052 00010B03
	s_and_b32 s82, s82, 0xffffff                               // 00000000823C: 8652FF52 00FFFFFF
	s_cmp_lt_u32 s82, s66                                      // 000000008244: BF0A4252
	s_cselect_b32 s21, s36, s60                                // 000000008248: 85153C24
	s_mov_b64 exec, s[20:21]                                   // 00000000824C: BEFE0114
	global_atomic_add_f32 v6, v138, s[8:9] offset:8            // 000000008250: DD348008 00088A06
	s_mov_b64 exec, s[36:37]                                   // 000000008258: BEFE0124
	v_mov_b32_e32 v6, v71                                      // 00000000825C: 7E0C0347
	s_mov_b64 s[60:61], 0                                      // 000000008260: BEBC0180
	v_readlane_b32 s82, v3, 6                                  // 000000008264: D2890052 00010D03
	s_and_b32 s82, s82, 0xffffff                               // 00000000826C: 8652FF52 00FFFFFF
	s_cmp_lt_u32 s82, s66                                      // 000000008274: BF0A4252
	s_cselect_b32 s20, s36, s60                                // 000000008278: 85143C24
	v_readlane_b32 s82, v3, 7                                  // 00000000827C: D2890052 00010F03
	s_and_b32 s82, s82, 0xffffff                               // 000000008284: 8652FF52 00FFFFFF
	s_cmp_lt_u32 s82, s66                                      // 00000000828C: BF0A4252
	s_cselect_b32 s21, s36, s60                                // 000000008290: 85153C24
	s_mov_b64 exec, s[20:21]                                   // 000000008294: BEFE0114
	global_atomic_add_f32 v6, v139, s[8:9] offset:8            // 000000008298: DD348008 00088B06
	s_mov_b64 exec, s[36:37]                                   // 0000000082A0: BEFE0124
	v_mov_b32_e32 v6, v72                                      // 0000000082A4: 7E0C0348
	s_mov_b64 s[60:61], 0                                      // 0000000082A8: BEBC0180
	v_readlane_b32 s82, v3, 8                                  // 0000000082AC: D2890052 00011103
	s_and_b32 s82, s82, 0xffffff                               // 0000000082B4: 8652FF52 00FFFFFF
	s_cmp_lt_u32 s82, s66                                      // 0000000082BC: BF0A4252
	s_cselect_b32 s20, s36, s60                                // 0000000082C0: 85143C24
	v_readlane_b32 s82, v3, 9                                  // 0000000082C4: D2890052 00011303
	s_and_b32 s82, s82, 0xffffff                               // 0000000082CC: 8652FF52 00FFFFFF
	s_cmp_lt_u32 s82, s66                                      // 0000000082D4: BF0A4252
	s_cselect_b32 s21, s36, s60                                // 0000000082D8: 85153C24
	s_mov_b64 exec, s[20:21]                                   // 0000000082DC: BEFE0114
	global_atomic_add_f32 v6, v142, s[8:9] offset:8            // 0000000082E0: DD348008 00088E06
	s_mov_b64 exec, s[36:37]                                   // 0000000082E8: BEFE0124
	v_mov_b32_e32 v6, v73                                      // 0000000082EC: 7E0C0349
	s_mov_b64 s[60:61], 0                                      // 0000000082F0: BEBC0180
	v_readlane_b32 s82, v3, 10                                 // 0000000082F4: D2890052 00011503
	s_and_b32 s82, s82, 0xffffff                               // 0000000082FC: 8652FF52 00FFFFFF
	s_cmp_lt_u32 s82, s66                                      // 000000008304: BF0A4252
	s_cselect_b32 s20, s36, s60                                // 000000008308: 85143C24
	v_readlane_b32 s82, v3, 11                                 // 00000000830C: D2890052 00011703
	s_and_b32 s82, s82, 0xffffff                               // 000000008314: 8652FF52 00FFFFFF
	s_cmp_lt_u32 s82, s66                                      // 00000000831C: BF0A4252
	s_cselect_b32 s21, s36, s60                                // 000000008320: 85153C24
	s_mov_b64 exec, s[20:21]                                   // 000000008324: BEFE0114
	global_atomic_add_f32 v6, v143, s[8:9] offset:8            // 000000008328: DD348008 00088F06
	s_mov_b64 exec, s[36:37]                                   // 000000008330: BEFE0124
	v_mov_b32_e32 v6, v74                                      // 000000008334: 7E0C034A
	s_mov_b64 s[60:61], 0                                      // 000000008338: BEBC0180
	v_readlane_b32 s82, v3, 12                                 // 00000000833C: D2890052 00011903
	s_and_b32 s82, s82, 0xffffff                               // 000000008344: 8652FF52 00FFFFFF
	s_cmp_lt_u32 s82, s66                                      // 00000000834C: BF0A4252
	s_cselect_b32 s20, s36, s60                                // 000000008350: 85143C24
	v_readlane_b32 s82, v3, 13                                 // 000000008354: D2890052 00011B03
	s_and_b32 s82, s82, 0xffffff                               // 00000000835C: 8652FF52 00FFFFFF
	s_cmp_lt_u32 s82, s66                                      // 000000008364: BF0A4252
	s_cselect_b32 s21, s36, s60                                // 000000008368: 85153C24
	s_mov_b64 exec, s[20:21]                                   // 00000000836C: BEFE0114
	global_atomic_add_f32 v6, v146, s[8:9] offset:8            // 000000008370: DD348008 00089206
	s_mov_b64 exec, s[36:37]                                   // 000000008378: BEFE0124
	v_mov_b32_e32 v6, v75                                      // 00000000837C: 7E0C034B
	s_mov_b64 s[60:61], 0                                      // 000000008380: BEBC0180
	v_readlane_b32 s82, v3, 14                                 // 000000008384: D2890052 00011D03
	s_and_b32 s82, s82, 0xffffff                               // 00000000838C: 8652FF52 00FFFFFF
	s_cmp_lt_u32 s82, s66                                      // 000000008394: BF0A4252
	s_cselect_b32 s20, s36, s60                                // 000000008398: 85143C24
	v_readlane_b32 s82, v3, 15                                 // 00000000839C: D2890052 00011F03
	s_and_b32 s82, s82, 0xffffff                               // 0000000083A4: 8652FF52 00FFFFFF
	s_cmp_lt_u32 s82, s66                                      // 0000000083AC: BF0A4252
	s_cselect_b32 s21, s36, s60                                // 0000000083B0: 85153C24
	s_mov_b64 exec, s[20:21]                                   // 0000000083B4: BEFE0114
	global_atomic_add_f32 v6, v147, s[8:9] offset:8            // 0000000083B8: DD348008 00089306
	s_mov_b64 exec, s[36:37]                                   // 0000000083C0: BEFE0124
	v_mov_b32_e32 v6, v76                                      // 0000000083C4: 7E0C034C
	s_mov_b64 s[60:61], 0                                      // 0000000083C8: BEBC0180
	v_readlane_b32 s82, v3, 16                                 // 0000000083CC: D2890052 00012103
	s_and_b32 s82, s82, 0xffffff                               // 0000000083D4: 8652FF52 00FFFFFF
	s_cmp_lt_u32 s82, s66                                      // 0000000083DC: BF0A4252
	s_cselect_b32 s20, s36, s60                                // 0000000083E0: 85143C24
	v_readlane_b32 s82, v3, 17                                 // 0000000083E4: D2890052 00012303
	s_and_b32 s82, s82, 0xffffff                               // 0000000083EC: 8652FF52 00FFFFFF
	s_cmp_lt_u32 s82, s66                                      // 0000000083F4: BF0A4252
	s_cselect_b32 s21, s36, s60                                // 0000000083F8: 85153C24
	s_mov_b64 exec, s[20:21]                                   // 0000000083FC: BEFE0114
	global_atomic_add_f32 v6, v150, s[8:9] offset:8            // 000000008400: DD348008 00089606
	s_mov_b64 exec, s[36:37]                                   // 000000008408: BEFE0124
	v_mov_b32_e32 v6, v77                                      // 00000000840C: 7E0C034D
	s_mov_b64 s[60:61], 0                                      // 000000008410: BEBC0180
	v_readlane_b32 s82, v3, 18                                 // 000000008414: D2890052 00012503
	s_and_b32 s82, s82, 0xffffff                               // 00000000841C: 8652FF52 00FFFFFF
	s_cmp_lt_u32 s82, s66                                      // 000000008424: BF0A4252
	s_cselect_b32 s20, s36, s60                                // 000000008428: 85143C24
	v_readlane_b32 s82, v3, 19                                 // 00000000842C: D2890052 00012703
	s_and_b32 s82, s82, 0xffffff                               // 000000008434: 8652FF52 00FFFFFF
	s_cmp_lt_u32 s82, s66                                      // 00000000843C: BF0A4252
	s_cselect_b32 s21, s36, s60                                // 000000008440: 85153C24
	s_mov_b64 exec, s[20:21]                                   // 000000008444: BEFE0114
	global_atomic_add_f32 v6, v151, s[8:9] offset:8            // 000000008448: DD348008 00089706
	s_mov_b64 exec, s[36:37]                                   // 000000008450: BEFE0124
	v_mov_b32_e32 v6, v78                                      // 000000008454: 7E0C034E
	s_mov_b64 s[60:61], 0                                      // 000000008458: BEBC0180
	v_readlane_b32 s82, v3, 20                                 // 00000000845C: D2890052 00012903
	s_and_b32 s82, s82, 0xffffff                               // 000000008464: 8652FF52 00FFFFFF
	s_cmp_lt_u32 s82, s66                                      // 00000000846C: BF0A4252
	s_cselect_b32 s20, s36, s60                                // 000000008470: 85143C24
	v_readlane_b32 s82, v3, 21                                 // 000000008474: D2890052 00012B03
	s_and_b32 s82, s82, 0xffffff                               // 00000000847C: 8652FF52 00FFFFFF
	s_cmp_lt_u32 s82, s66                                      // 000000008484: BF0A4252
	s_cselect_b32 s21, s36, s60                                // 000000008488: 85153C24
	s_mov_b64 exec, s[20:21]                                   // 00000000848C: BEFE0114
	global_atomic_add_f32 v6, v154, s[8:9] offset:8            // 000000008490: DD348008 00089A06
	s_mov_b64 exec, s[36:37]                                   // 000000008498: BEFE0124
	v_mov_b32_e32 v6, v79                                      // 00000000849C: 7E0C034F
	s_mov_b64 s[60:61], 0                                      // 0000000084A0: BEBC0180
	v_readlane_b32 s82, v3, 22                                 // 0000000084A4: D2890052 00012D03
	s_and_b32 s82, s82, 0xffffff                               // 0000000084AC: 8652FF52 00FFFFFF
	s_cmp_lt_u32 s82, s66                                      // 0000000084B4: BF0A4252
	s_cselect_b32 s20, s36, s60                                // 0000000084B8: 85143C24
	v_readlane_b32 s82, v3, 23                                 // 0000000084BC: D2890052 00012F03
	s_and_b32 s82, s82, 0xffffff                               // 0000000084C4: 8652FF52 00FFFFFF
	s_cmp_lt_u32 s82, s66                                      // 0000000084CC: BF0A4252
	s_cselect_b32 s21, s36, s60                                // 0000000084D0: 85153C24
	s_mov_b64 exec, s[20:21]                                   // 0000000084D4: BEFE0114
	global_atomic_add_f32 v6, v155, s[8:9] offset:8            // 0000000084D8: DD348008 00089B06
	s_mov_b64 exec, s[36:37]                                   // 0000000084E0: BEFE0124
	v_mov_b32_e32 v6, v80                                      // 0000000084E4: 7E0C0350
	s_mov_b64 s[60:61], 0                                      // 0000000084E8: BEBC0180
	v_readlane_b32 s82, v3, 24                                 // 0000000084EC: D2890052 00013103
	s_and_b32 s82, s82, 0xffffff                               // 0000000084F4: 8652FF52 00FFFFFF
	s_cmp_lt_u32 s82, s66                                      // 0000000084FC: BF0A4252
	s_cselect_b32 s20, s36, s60                                // 000000008500: 85143C24
	v_readlane_b32 s82, v3, 25                                 // 000000008504: D2890052 00013303
	s_and_b32 s82, s82, 0xffffff                               // 00000000850C: 8652FF52 00FFFFFF
	s_cmp_lt_u32 s82, s66                                      // 000000008514: BF0A4252
	s_cselect_b32 s21, s36, s60                                // 000000008518: 85153C24
	s_mov_b64 exec, s[20:21]                                   // 00000000851C: BEFE0114
	global_atomic_add_f32 v6, v158, s[8:9] offset:8            // 000000008520: DD348008 00089E06
	s_mov_b64 exec, s[36:37]                                   // 000000008528: BEFE0124
	v_mov_b32_e32 v6, v81                                      // 00000000852C: 7E0C0351
	s_mov_b64 s[60:61], 0                                      // 000000008530: BEBC0180
	v_readlane_b32 s82, v3, 26                                 // 000000008534: D2890052 00013503
	s_and_b32 s82, s82, 0xffffff                               // 00000000853C: 8652FF52 00FFFFFF
	s_cmp_lt_u32 s82, s66                                      // 000000008544: BF0A4252
	s_cselect_b32 s20, s36, s60                                // 000000008548: 85143C24
	v_readlane_b32 s82, v3, 27                                 // 00000000854C: D2890052 00013703
	s_and_b32 s82, s82, 0xffffff                               // 000000008554: 8652FF52 00FFFFFF
	s_cmp_lt_u32 s82, s66                                      // 00000000855C: BF0A4252
	s_cselect_b32 s21, s36, s60                                // 000000008560: 85153C24
	s_mov_b64 exec, s[20:21]                                   // 000000008564: BEFE0114
	global_atomic_add_f32 v6, v159, s[8:9] offset:8            // 000000008568: DD348008 00089F06
	s_mov_b64 exec, s[36:37]                                   // 000000008570: BEFE0124
	v_mov_b32_e32 v6, v82                                      // 000000008574: 7E0C0352
	s_mov_b64 s[60:61], 0                                      // 000000008578: BEBC0180
	v_readlane_b32 s82, v3, 28                                 // 00000000857C: D2890052 00013903
	s_and_b32 s82, s82, 0xffffff                               // 000000008584: 8652FF52 00FFFFFF
	s_cmp_lt_u32 s82, s66                                      // 00000000858C: BF0A4252
	s_cselect_b32 s20, s36, s60                                // 000000008590: 85143C24
	v_readlane_b32 s82, v3, 29                                 // 000000008594: D2890052 00013B03
	s_and_b32 s82, s82, 0xffffff                               // 00000000859C: 8652FF52 00FFFFFF
	s_cmp_lt_u32 s82, s66                                      // 0000000085A4: BF0A4252
	s_cselect_b32 s21, s36, s60                                // 0000000085A8: 85153C24
	s_mov_b64 exec, s[20:21]                                   // 0000000085AC: BEFE0114
	global_atomic_add_f32 v6, v162, s[8:9] offset:8            // 0000000085B0: DD348008 0008A206
	s_mov_b64 exec, s[36:37]                                   // 0000000085B8: BEFE0124
	v_mov_b32_e32 v6, v83                                      // 0000000085BC: 7E0C0353
	s_mov_b64 s[60:61], 0                                      // 0000000085C0: BEBC0180
	v_readlane_b32 s82, v3, 30                                 // 0000000085C4: D2890052 00013D03
	s_and_b32 s82, s82, 0xffffff                               // 0000000085CC: 8652FF52 00FFFFFF
	s_cmp_lt_u32 s82, s66                                      // 0000000085D4: BF0A4252
	s_cselect_b32 s20, s36, s60                                // 0000000085D8: 85143C24
	v_readlane_b32 s82, v3, 31                                 // 0000000085DC: D2890052 00013F03
	s_and_b32 s82, s82, 0xffffff                               // 0000000085E4: 8652FF52 00FFFFFF
	s_cmp_lt_u32 s82, s66                                      // 0000000085EC: BF0A4252
	s_cselect_b32 s21, s36, s60                                // 0000000085F0: 85153C24
	s_mov_b64 exec, s[20:21]                                   // 0000000085F4: BEFE0114
	global_atomic_add_f32 v6, v163, s[8:9] offset:8            // 0000000085F8: DD348008 0008A306
	s_mov_b64 exec, s[36:37]                                   // 000000008600: BEFE0124
	v_mov_b32_e32 v6, v84                                      // 000000008604: 7E0C0354
	s_mov_b64 s[60:61], 0                                      // 000000008608: BEBC0180
	v_readlane_b32 s82, v3, 32                                 // 00000000860C: D2890052 00014103
	s_and_b32 s82, s82, 0xffffff                               // 000000008614: 8652FF52 00FFFFFF
	s_cmp_lt_u32 s82, s66                                      // 00000000861C: BF0A4252
	s_cselect_b32 s20, s36, s60                                // 000000008620: 85143C24
	v_readlane_b32 s82, v3, 33                                 // 000000008624: D2890052 00014303
	s_and_b32 s82, s82, 0xffffff                               // 00000000862C: 8652FF52 00FFFFFF
	s_cmp_lt_u32 s82, s66                                      // 000000008634: BF0A4252
	s_cselect_b32 s21, s36, s60                                // 000000008638: 85153C24
	s_mov_b64 exec, s[20:21]                                   // 00000000863C: BEFE0114
	global_atomic_add_f32 v6, v166, s[8:9] offset:8            // 000000008640: DD348008 0008A606
	s_mov_b64 exec, s[36:37]                                   // 000000008648: BEFE0124
	v_mov_b32_e32 v6, v85                                      // 00000000864C: 7E0C0355
	s_mov_b64 s[60:61], 0                                      // 000000008650: BEBC0180
	v_readlane_b32 s82, v3, 34                                 // 000000008654: D2890052 00014503
	s_and_b32 s82, s82, 0xffffff                               // 00000000865C: 8652FF52 00FFFFFF
	s_cmp_lt_u32 s82, s66                                      // 000000008664: BF0A4252
	s_cselect_b32 s20, s36, s60                                // 000000008668: 85143C24
	v_readlane_b32 s82, v3, 35                                 // 00000000866C: D2890052 00014703
	s_and_b32 s82, s82, 0xffffff                               // 000000008674: 8652FF52 00FFFFFF
	s_cmp_lt_u32 s82, s66                                      // 00000000867C: BF0A4252
	s_cselect_b32 s21, s36, s60                                // 000000008680: 85153C24
	s_mov_b64 exec, s[20:21]                                   // 000000008684: BEFE0114
	global_atomic_add_f32 v6, v167, s[8:9] offset:8            // 000000008688: DD348008 0008A706
	s_mov_b64 exec, s[36:37]                                   // 000000008690: BEFE0124
	v_mov_b32_e32 v6, v86                                      // 000000008694: 7E0C0356
	s_mov_b64 s[60:61], 0                                      // 000000008698: BEBC0180
	v_readlane_b32 s82, v3, 36                                 // 00000000869C: D2890052 00014903
	s_and_b32 s82, s82, 0xffffff                               // 0000000086A4: 8652FF52 00FFFFFF
	s_cmp_lt_u32 s82, s66                                      // 0000000086AC: BF0A4252
	s_cselect_b32 s20, s36, s60                                // 0000000086B0: 85143C24
	v_readlane_b32 s82, v3, 37                                 // 0000000086B4: D2890052 00014B03
	s_and_b32 s82, s82, 0xffffff                               // 0000000086BC: 8652FF52 00FFFFFF
	s_cmp_lt_u32 s82, s66                                      // 0000000086C4: BF0A4252
	s_cselect_b32 s21, s36, s60                                // 0000000086C8: 85153C24
	s_mov_b64 exec, s[20:21]                                   // 0000000086CC: BEFE0114
	global_atomic_add_f32 v6, v170, s[8:9] offset:8            // 0000000086D0: DD348008 0008AA06
	s_mov_b64 exec, s[36:37]                                   // 0000000086D8: BEFE0124
	v_mov_b32_e32 v6, v87                                      // 0000000086DC: 7E0C0357
	s_mov_b64 s[60:61], 0                                      // 0000000086E0: BEBC0180
	v_readlane_b32 s82, v3, 38                                 // 0000000086E4: D2890052 00014D03
	s_and_b32 s82, s82, 0xffffff                               // 0000000086EC: 8652FF52 00FFFFFF
	s_cmp_lt_u32 s82, s66                                      // 0000000086F4: BF0A4252
	s_cselect_b32 s20, s36, s60                                // 0000000086F8: 85143C24
	v_readlane_b32 s82, v3, 39                                 // 0000000086FC: D2890052 00014F03
	s_and_b32 s82, s82, 0xffffff                               // 000000008704: 8652FF52 00FFFFFF
	s_cmp_lt_u32 s82, s66                                      // 00000000870C: BF0A4252
	s_cselect_b32 s21, s36, s60                                // 000000008710: 85153C24
	s_mov_b64 exec, s[20:21]                                   // 000000008714: BEFE0114
	global_atomic_add_f32 v6, v171, s[8:9] offset:8            // 000000008718: DD348008 0008AB06
	s_mov_b64 exec, s[36:37]                                   // 000000008720: BEFE0124
	s_branch label_2AA3                                        // 000000008724: BF821356

0000000000008728 <label_174D>:
	s_waitcnt vmcnt(0) lgkmcnt(0)                              // 000000008728: BF8C0070
	s_barrier                                                  // 00000000872C: BF8A0000
	v_mfma_f32_16x16x32_fp8_fp8 v[92:95], a[160:161], a[0:1], v[92:95]// 000000008730: D3F3005C 1D7201A0
	buffer_load_dwordx4 a[168:171], v88, s[84:87], 0 offen     // 000000008738: E05C1000 8095A858
	v_mfma_f32_16x16x32_fp8_fp8 v[92:95], a[162:163], a[2:3], v[92:95]// 000000008740: D3F3005C 1D7205A2
	v_mfma_f32_16x16x32_fp8_fp8 v[92:95], a[164:165], a[4:5], v[92:95]// 000000008748: D3F3005C 1D7209A4
	v_mfma_f32_16x16x32_fp8_fp8 v[92:95], a[166:167], a[6:7], v[92:95]// 000000008750: D3F3005C 1D720DA6
	v_mfma_f32_16x16x32_fp8_fp8 v[96:99], a[160:161], a[8:9], v[96:99]// 000000008758: D3F30060 1D8211A0
	buffer_load_dwordx4 a[172:175], v88, s[84:87], 0 offen offset:1024// 000000008760: E05C1400 8095AC58
	buffer_load_dword v68, s[20:23], 0 offen lds               // 000000008768: E0511000 80050044
	s_add_u32 m0, 0x100, s48                                   // 000000008770: 807C30FF 00000100
	v_mfma_f32_16x16x32_fp8_fp8 v[96:99], a[162:163], a[10:11], v[96:99]// 000000008778: D3F30060 1D8215A2
	v_mfma_f32_16x16x32_fp8_fp8 v[96:99], a[164:165], a[12:13], v[96:99]// 000000008780: D3F30060 1D8219A4
	buffer_load_dword v69, s[20:23], 0 offen lds               // 000000008788: E0511000 80050045
	s_add_u32 m0, 0x200, s48                                   // 000000008790: 807C30FF 00000200
	v_mfma_f32_16x16x32_fp8_fp8 v[96:99], a[166:167], a[14:15], v[96:99]// 000000008798: D3F30060 1D821DA6
	v_mfma_f32_16x16x32_fp8_fp8 v[100:103], a[160:161], a[16:17], v[100:103]// 0000000087A0: D3F30064 1D9221A0
	buffer_load_dword v70, s[20:23], 0 offen lds               // 0000000087A8: E0511000 80050046
	s_add_u32 m0, 0x300, s48                                   // 0000000087B0: 807C30FF 00000300
	v_mfma_f32_16x16x32_fp8_fp8 v[100:103], a[162:163], a[18:19], v[100:103]// 0000000087B8: D3F30064 1D9225A2
	v_mfma_f32_16x16x32_fp8_fp8 v[100:103], a[164:165], a[20:21], v[100:103]// 0000000087C0: D3F30064 1D9229A4
	buffer_load_dword v71, s[20:23], 0 offen lds               // 0000000087C8: E0511000 80050047
	s_add_u32 m0, 0x400, s48                                   // 0000000087D0: 807C30FF 00000400
	v_mfma_f32_16x16x32_fp8_fp8 v[100:103], a[166:167], a[22:23], v[100:103]// 0000000087D8: D3F30064 1D922DA6
	v_mfma_f32_16x16x32_fp8_fp8 v[104:107], a[160:161], a[24:25], v[104:107]// 0000000087E0: D3F30068 1DA231A0
	buffer_load_dword v72, s[20:23], 0 offen lds               // 0000000087E8: E0511000 80050048
	s_add_u32 m0, 0x500, s48                                   // 0000000087F0: 807C30FF 00000500
	v_mfma_f32_16x16x32_fp8_fp8 v[104:107], a[162:163], a[26:27], v[104:107]// 0000000087F8: D3F30068 1DA235A2
	v_mfma_f32_16x16x32_fp8_fp8 v[104:107], a[164:165], a[28:29], v[104:107]// 000000008800: D3F30068 1DA239A4
	buffer_load_dword v73, s[20:23], 0 offen lds               // 000000008808: E0511000 80050049
	s_add_u32 m0, 0x600, s48                                   // 000000008810: 807C30FF 00000600
	v_mfma_f32_16x16x32_fp8_fp8 v[104:107], a[166:167], a[30:31], v[104:107]// 000000008818: D3F30068 1DA23DA6
	v_mfma_f32_16x16x32_fp8_fp8 v[108:111], a[160:161], a[32:33], v[108:111]// 000000008820: D3F3006C 1DB241A0
	buffer_load_dword v74, s[20:23], 0 offen lds               // 000000008828: E0511000 8005004A
	s_add_u32 m0, 0x700, s48                                   // 000000008830: 807C30FF 00000700
	v_mfma_f32_16x16x32_fp8_fp8 v[108:111], a[162:163], a[34:35], v[108:111]// 000000008838: D3F3006C 1DB245A2
	v_mfma_f32_16x16x32_fp8_fp8 v[108:111], a[164:165], a[36:37], v[108:111]// 000000008840: D3F3006C 1DB249A4
	buffer_load_dword v75, s[20:23], 0 offen lds               // 000000008848: E0511000 8005004B
	s_add_u32 m0, 0x800, s48                                   // 000000008850: 807C30FF 00000800
	v_mfma_f32_16x16x32_fp8_fp8 v[108:111], a[166:167], a[38:39], v[108:111]// 000000008858: D3F3006C 1DB24DA6
	v_mfma_f32_16x16x32_fp8_fp8 v[112:115], a[160:161], a[40:41], v[112:115]// 000000008860: D3F30070 1DC251A0
	buffer_load_dword v76, s[20:23], 0 offen lds               // 000000008868: E0511000 8005004C
	s_add_u32 m0, 0x900, s48                                   // 000000008870: 807C30FF 00000900
	v_mfma_f32_16x16x32_fp8_fp8 v[112:115], a[162:163], a[42:43], v[112:115]// 000000008878: D3F30070 1DC255A2
	v_mfma_f32_16x16x32_fp8_fp8 v[112:115], a[164:165], a[44:45], v[112:115]// 000000008880: D3F30070 1DC259A4
	buffer_load_dword v77, s[20:23], 0 offen lds               // 000000008888: E0511000 8005004D
	s_add_u32 m0, 0xa00, s48                                   // 000000008890: 807C30FF 00000A00
	v_mfma_f32_16x16x32_fp8_fp8 v[112:115], a[166:167], a[46:47], v[112:115]// 000000008898: D3F30070 1DC25DA6
	v_mfma_f32_16x16x32_fp8_fp8 v[116:119], a[160:161], a[48:49], v[116:119]// 0000000088A0: D3F30074 1DD261A0
	buffer_load_dword v78, s[20:23], 0 offen lds               // 0000000088A8: E0511000 8005004E
	s_add_u32 m0, 0xb00, s48                                   // 0000000088B0: 807C30FF 00000B00
	v_mfma_f32_16x16x32_fp8_fp8 v[116:119], a[162:163], a[50:51], v[116:119]// 0000000088B8: D3F30074 1DD265A2
	v_mfma_f32_16x16x32_fp8_fp8 v[116:119], a[164:165], a[52:53], v[116:119]// 0000000088C0: D3F30074 1DD269A4
	buffer_load_dword v79, s[20:23], 0 offen lds               // 0000000088C8: E0511000 8005004F
	s_add_u32 m0, 0xc00, s48                                   // 0000000088D0: 807C30FF 00000C00
	v_mfma_f32_16x16x32_fp8_fp8 v[116:119], a[166:167], a[54:55], v[116:119]// 0000000088D8: D3F30074 1DD26DA6
	v_mfma_f32_16x16x32_fp8_fp8 v[120:123], a[160:161], a[56:57], v[120:123]// 0000000088E0: D3F30078 1DE271A0
	buffer_load_dword v80, s[20:23], 0 offen lds               // 0000000088E8: E0511000 80050050
	s_add_u32 m0, 0xd00, s48                                   // 0000000088F0: 807C30FF 00000D00
	v_mfma_f32_16x16x32_fp8_fp8 v[120:123], a[162:163], a[58:59], v[120:123]// 0000000088F8: D3F30078 1DE275A2
	v_mfma_f32_16x16x32_fp8_fp8 v[120:123], a[164:165], a[60:61], v[120:123]// 000000008900: D3F30078 1DE279A4
	buffer_load_dword v81, s[20:23], 0 offen lds               // 000000008908: E0511000 80050051
	s_add_u32 m0, 0xe00, s48                                   // 000000008910: 807C30FF 00000E00
	v_mfma_f32_16x16x32_fp8_fp8 v[120:123], a[166:167], a[62:63], v[120:123]// 000000008918: D3F30078 1DE27DA6
	v_mfma_f32_16x16x32_fp8_fp8 v[124:127], a[160:161], a[64:65], v[124:127]// 000000008920: D3F3007C 1DF281A0
	buffer_load_dword v82, s[20:23], 0 offen lds               // 000000008928: E0511000 80050052
	s_add_u32 m0, 0xf00, s48                                   // 000000008930: 807C30FF 00000F00
	v_mfma_f32_16x16x32_fp8_fp8 v[124:127], a[162:163], a[66:67], v[124:127]// 000000008938: D3F3007C 1DF285A2
	v_mfma_f32_16x16x32_fp8_fp8 v[124:127], a[164:165], a[68:69], v[124:127]// 000000008940: D3F3007C 1DF289A4
	buffer_load_dword v83, s[20:23], 0 offen lds               // 000000008948: E0511000 80050053
	s_add_u32 m0, 0x1000, s48                                  // 000000008950: 807C30FF 00001000
	v_mfma_f32_16x16x32_fp8_fp8 v[124:127], a[166:167], a[70:71], v[124:127]// 000000008958: D3F3007C 1DF28DA6
	v_mfma_f32_16x16x32_fp8_fp8 v[128:131], a[160:161], a[72:73], v[128:131]// 000000008960: D3F30080 1E0291A0
	buffer_load_dword v84, s[20:23], 0 offen lds               // 000000008968: E0511000 80050054
	s_add_u32 m0, 0x1100, s48                                  // 000000008970: 807C30FF 00001100
	v_mfma_f32_16x16x32_fp8_fp8 v[128:131], a[162:163], a[74:75], v[128:131]// 000000008978: D3F30080 1E0295A2
	s_add_u32 s60, 0x80, s80                                   // 000000008980: 803C50FF 00000080
	s_cmp_lt_u32 s60, s81                                      // 000000008988: BF0A513C
	s_cselect_b32 s83, s83, 0                                  // 00000000898C: 85538053
	v_mfma_f32_16x16x32_fp8_fp8 v[128:131], a[164:165], a[76:77], v[128:131]// 000000008990: D3F30080 1E0299A4
	buffer_load_dword v85, s[20:23], 0 offen lds               // 000000008998: E0511000 80050055
	s_add_u32 m0, 0x1200, s48                                  // 0000000089A0: 807C30FF 00001200
	v_mfma_f32_16x16x32_fp8_fp8 v[128:131], a[166:167], a[78:79], v[128:131]// 0000000089A8: D3F30080 1E029DA6
	buffer_load_dword v86, s[20:23], 0 offen lds               // 0000000089B0: E0511000 80050056
	s_add_u32 m0, 0x1300, s48                                  // 0000000089B8: 807C30FF 00001300
	buffer_load_dword v87, s[20:23], 0 offen lds               // 0000000089C0: E0511000 80050057
	s_add_u32 m0, 0, s49                                       // 0000000089C8: 807C3180
	s_waitcnt vmcnt(20)                                        // 0000000089CC: BF8C4F74
	v_mfma_f32_16x16x32_fp8_fp8 v[132:135], a[168:169], a[0:1], v[132:135]// 0000000089D0: D3F30084 1E1201A8
	buffer_load_dwordx4 a[160:163], v88, s[24:27], 0 offen     // 0000000089D8: E05C1000 8086A058
	v_mfma_f32_16x16x32_fp8_fp8 v[132:135], a[170:171], a[2:3], v[132:135]// 0000000089E0: D3F30084 1E1205AA
	v_mfma_f32_16x16x32_fp8_fp8 v[132:135], a[172:173], a[4:5], v[132:135]// 0000000089E8: D3F30084 1E1209AC
	ds_read_b128 a[80:83], v2 offset:20608                     // 0000000089F0: DBFE5080 50000002
	ds_read_b128 a[84:87], v2 offset:20672                     // 0000000089F8: DBFE50C0 54000002
	v_mfma_f32_16x16x32_fp8_fp8 v[132:135], a[174:175], a[6:7], v[132:135]// 000000008A00: D3F30084 1E120DAE
	v_mfma_f32_16x16x32_fp8_fp8 v[136:139], a[168:169], a[8:9], v[136:139]// 000000008A08: D3F30088 1E2211A8
	buffer_load_dwordx4 a[164:167], v88, s[24:27], 0 offen offset:1024// 000000008A10: E05C1400 8086A458
	v_mfma_f32_16x16x32_fp8_fp8 v[136:139], a[170:171], a[10:11], v[136:139]// 000000008A18: D3F30088 1E2215AA
	v_mfma_f32_16x16x32_fp8_fp8 v[136:139], a[172:173], a[12:13], v[136:139]// 000000008A20: D3F30088 1E2219AC
	ds_read_b128 a[88:91], v2 offset:21120                     // 000000008A28: DBFE5280 58000002
	ds_read_b128 a[92:95], v2 offset:21184                     // 000000008A30: DBFE52C0 5C000002
	v_mfma_f32_16x16x32_fp8_fp8 v[136:139], a[174:175], a[14:15], v[136:139]// 000000008A38: D3F30088 1E221DAE
	v_mfma_f32_16x16x32_fp8_fp8 v[140:143], a[168:169], a[16:17], v[140:143]// 000000008A40: D3F3008C 1E3221A8
	v_mfma_f32_16x16x32_fp8_fp8 v[140:143], a[170:171], a[18:19], v[140:143]// 000000008A48: D3F3008C 1E3225AA
	v_mfma_f32_16x16x32_fp8_fp8 v[140:143], a[172:173], a[20:21], v[140:143]// 000000008A50: D3F3008C 1E3229AC
	ds_read_b128 a[96:99], v2 offset:21632                     // 000000008A58: DBFE5480 60000002
	ds_read_b128 a[100:103], v2 offset:21696                   // 000000008A60: DBFE54C0 64000002
	v_mfma_f32_16x16x32_fp8_fp8 v[140:143], a[174:175], a[22:23], v[140:143]// 000000008A68: D3F3008C 1E322DAE
	v_mfma_f32_16x16x32_fp8_fp8 v[144:147], a[168:169], a[24:25], v[144:147]// 000000008A70: D3F30090 1E4231A8
	v_mfma_f32_16x16x32_fp8_fp8 v[144:147], a[170:171], a[26:27], v[144:147]// 000000008A78: D3F30090 1E4235AA
	v_mfma_f32_16x16x32_fp8_fp8 v[144:147], a[172:173], a[28:29], v[144:147]// 000000008A80: D3F30090 1E4239AC
	ds_read_b128 a[104:107], v2 offset:22144                   // 000000008A88: DBFE5680 68000002
	ds_read_b128 a[108:111], v2 offset:22208                   // 000000008A90: DBFE56C0 6C000002
	v_mfma_f32_16x16x32_fp8_fp8 v[144:147], a[174:175], a[30:31], v[144:147]// 000000008A98: D3F30090 1E423DAE
	v_mfma_f32_16x16x32_fp8_fp8 v[148:151], a[168:169], a[32:33], v[148:151]// 000000008AA0: D3F30094 1E5241A8
	v_mfma_f32_16x16x32_fp8_fp8 v[148:151], a[170:171], a[34:35], v[148:151]// 000000008AA8: D3F30094 1E5245AA
	v_mfma_f32_16x16x32_fp8_fp8 v[148:151], a[172:173], a[36:37], v[148:151]// 000000008AB0: D3F30094 1E5249AC
	ds_read_b128 a[112:115], v2 offset:22656                   // 000000008AB8: DBFE5880 70000002
	ds_read_b128 a[116:119], v2 offset:22720                   // 000000008AC0: DBFE58C0 74000002
	v_mfma_f32_16x16x32_fp8_fp8 v[148:151], a[174:175], a[38:39], v[148:151]// 000000008AC8: D3F30094 1E524DAE
	v_mfma_f32_16x16x32_fp8_fp8 v[152:155], a[168:169], a[40:41], v[152:155]// 000000008AD0: D3F30098 1E6251A8
	v_mfma_f32_16x16x32_fp8_fp8 v[152:155], a[170:171], a[42:43], v[152:155]// 000000008AD8: D3F30098 1E6255AA
	v_mfma_f32_16x16x32_fp8_fp8 v[152:155], a[172:173], a[44:45], v[152:155]// 000000008AE0: D3F30098 1E6259AC
	ds_read_b128 a[120:123], v2 offset:23168                   // 000000008AE8: DBFE5A80 78000002
	ds_read_b128 a[124:127], v2 offset:23232                   // 000000008AF0: DBFE5AC0 7C000002
	v_mfma_f32_16x16x32_fp8_fp8 v[152:155], a[174:175], a[46:47], v[152:155]// 000000008AF8: D3F30098 1E625DAE
	v_mfma_f32_16x16x32_fp8_fp8 v[156:159], a[168:169], a[48:49], v[156:159]// 000000008B00: D3F3009C 1E7261A8
	v_mfma_f32_16x16x32_fp8_fp8 v[156:159], a[170:171], a[50:51], v[156:159]// 000000008B08: D3F3009C 1E7265AA
	v_mfma_f32_16x16x32_fp8_fp8 v[156:159], a[172:173], a[52:53], v[156:159]// 000000008B10: D3F3009C 1E7269AC
	ds_read_b128 a[128:131], v2 offset:23680                   // 000000008B18: DBFE5C80 80000002
	ds_read_b128 a[132:135], v2 offset:23744                   // 000000008B20: DBFE5CC0 84000002
	v_mfma_f32_16x16x32_fp8_fp8 v[156:159], a[174:175], a[54:55], v[156:159]// 000000008B28: D3F3009C 1E726DAE
	v_mfma_f32_16x16x32_fp8_fp8 v[160:163], a[168:169], a[56:57], v[160:163]// 000000008B30: D3F300A0 1E8271A8
	v_mfma_f32_16x16x32_fp8_fp8 v[160:163], a[170:171], a[58:59], v[160:163]// 000000008B38: D3F300A0 1E8275AA
	v_mfma_f32_16x16x32_fp8_fp8 v[160:163], a[172:173], a[60:61], v[160:163]// 000000008B40: D3F300A0 1E8279AC
	ds_read_b128 a[136:139], v2 offset:24192                   // 000000008B48: DBFE5E80 88000002
	ds_read_b128 a[140:143], v2 offset:24256                   // 000000008B50: DBFE5EC0 8C000002
	v_mfma_f32_16x16x32_fp8_fp8 v[160:163], a[174:175], a[62:63], v[160:163]// 000000008B58: D3F300A0 1E827DAE
	v_mfma_f32_16x16x32_fp8_fp8 v[164:167], a[168:169], a[64:65], v[164:167]// 000000008B60: D3F300A4 1E9281A8
	v_mfma_f32_16x16x32_fp8_fp8 v[164:167], a[170:171], a[66:67], v[164:167]// 000000008B68: D3F300A4 1E9285AA
	v_mfma_f32_16x16x32_fp8_fp8 v[164:167], a[172:173], a[68:69], v[164:167]// 000000008B70: D3F300A4 1E9289AC
	ds_read_b128 a[144:147], v2 offset:24704                   // 000000008B78: DBFE6080 90000002
	ds_read_b128 a[148:151], v2 offset:24768                   // 000000008B80: DBFE60C0 94000002
	s_add_u32 s60, 0x180, s80                                  // 000000008B88: 803C50FF 00000180
	s_cmp_lt_u32 s60, s81                                      // 000000008B90: BF0A513C
	s_cselect_b32 s57, s57, 0                                  // 000000008B94: 85398039
	v_mfma_f32_16x16x32_fp8_fp8 v[164:167], a[174:175], a[70:71], v[164:167]// 000000008B98: D3F300A4 1E928DAE
	s_add_u32 s60, 0x100, s80                                  // 000000008BA0: 803C50FF 00000100
	s_cmp_lt_u32 s60, s81                                      // 000000008BA8: BF0A513C
	s_cselect_b32 s58, s58, 0                                  // 000000008BAC: 853A803A
	v_mfma_f32_16x16x32_fp8_fp8 v[168:171], a[168:169], a[72:73], v[168:171]// 000000008BB0: D3F300A8 1EA291A8
	s_add_u32 s24, s58, s24                                    // 000000008BB8: 8018183A
	s_addc_u32 s25, 0, s25                                     // 000000008BBC: 82191980
	v_mfma_f32_16x16x32_fp8_fp8 v[168:171], a[170:171], a[74:75], v[168:171]// 000000008BC0: D3F300A8 1EA295AA
	s_add_u32 s20, s57, s20                                    // 000000008BC8: 80141439
	s_addc_u32 s21, 0, s21                                     // 000000008BCC: 82151580
	v_mfma_f32_16x16x32_fp8_fp8 v[168:171], a[172:173], a[76:77], v[168:171]// 000000008BD0: D3F300A8 1EA299AC
	ds_read_b128 a[152:155], v2 offset:25216                   // 000000008BD8: DBFE6280 98000002
	ds_read_b128 a[156:159], v2 offset:25280                   // 000000008BE0: DBFE62C0 9C000002
	s_add_u32 s84, s83, s84                                    // 000000008BE8: 80545453
	s_addc_u32 s85, 0, s85                                     // 000000008BEC: 82555580
	v_mfma_f32_16x16x32_fp8_fp8 v[168:171], a[174:175], a[78:79], v[168:171]// 000000008BF0: D3F300A8 1EA29DAE
	s_addk_i32 s80, 0x80                                       // 000000008BF8: B7500080
	s_cmp_lt_i32 s80, s81                                      // 000000008BFC: BF045150
	s_cbranch_scc0 label_19BC                                  // 000000008C00: BF840138
	s_waitcnt vmcnt(0) lgkmcnt(0)                              // 000000008C04: BF8C0070
	s_barrier                                                  // 000000008C08: BF8A0000
	v_mfma_f32_16x16x32_fp8_fp8 v[92:95], a[160:161], a[80:81], v[92:95]// 000000008C0C: D3F3005C 1D72A1A0
	buffer_load_dwordx4 a[168:171], v88, s[84:87], 0 offen     // 000000008C14: E05C1000 8095A858
	v_mfma_f32_16x16x32_fp8_fp8 v[92:95], a[162:163], a[82:83], v[92:95]// 000000008C1C: D3F3005C 1D72A5A2
	v_mfma_f32_16x16x32_fp8_fp8 v[92:95], a[164:165], a[84:85], v[92:95]// 000000008C24: D3F3005C 1D72A9A4
	v_mfma_f32_16x16x32_fp8_fp8 v[92:95], a[166:167], a[86:87], v[92:95]// 000000008C2C: D3F3005C 1D72ADA6
	v_mfma_f32_16x16x32_fp8_fp8 v[96:99], a[160:161], a[88:89], v[96:99]// 000000008C34: D3F30060 1D82B1A0
	buffer_load_dwordx4 a[172:175], v88, s[84:87], 0 offen offset:1024// 000000008C3C: E05C1400 8095AC58
	buffer_load_dword v68, s[20:23], 0 offen lds               // 000000008C44: E0511000 80050044
	s_add_u32 m0, 0x100, s49                                   // 000000008C4C: 807C31FF 00000100
	v_mfma_f32_16x16x32_fp8_fp8 v[96:99], a[162:163], a[90:91], v[96:99]// 000000008C54: D3F30060 1D82B5A2
	v_mfma_f32_16x16x32_fp8_fp8 v[96:99], a[164:165], a[92:93], v[96:99]// 000000008C5C: D3F30060 1D82B9A4
	buffer_load_dword v69, s[20:23], 0 offen lds               // 000000008C64: E0511000 80050045
	s_add_u32 m0, 0x200, s49                                   // 000000008C6C: 807C31FF 00000200
	v_mfma_f32_16x16x32_fp8_fp8 v[96:99], a[166:167], a[94:95], v[96:99]// 000000008C74: D3F30060 1D82BDA6
	v_mfma_f32_16x16x32_fp8_fp8 v[100:103], a[160:161], a[96:97], v[100:103]// 000000008C7C: D3F30064 1D92C1A0
	buffer_load_dword v70, s[20:23], 0 offen lds               // 000000008C84: E0511000 80050046
	s_add_u32 m0, 0x300, s49                                   // 000000008C8C: 807C31FF 00000300
	v_mfma_f32_16x16x32_fp8_fp8 v[100:103], a[162:163], a[98:99], v[100:103]// 000000008C94: D3F30064 1D92C5A2
	v_mfma_f32_16x16x32_fp8_fp8 v[100:103], a[164:165], a[100:101], v[100:103]// 000000008C9C: D3F30064 1D92C9A4
	buffer_load_dword v71, s[20:23], 0 offen lds               // 000000008CA4: E0511000 80050047
	s_add_u32 m0, 0x400, s49                                   // 000000008CAC: 807C31FF 00000400
	v_mfma_f32_16x16x32_fp8_fp8 v[100:103], a[166:167], a[102:103], v[100:103]// 000000008CB4: D3F30064 1D92CDA6
	v_mfma_f32_16x16x32_fp8_fp8 v[104:107], a[160:161], a[104:105], v[104:107]// 000000008CBC: D3F30068 1DA2D1A0
	buffer_load_dword v72, s[20:23], 0 offen lds               // 000000008CC4: E0511000 80050048
	s_add_u32 m0, 0x500, s49                                   // 000000008CCC: 807C31FF 00000500
	v_mfma_f32_16x16x32_fp8_fp8 v[104:107], a[162:163], a[106:107], v[104:107]// 000000008CD4: D3F30068 1DA2D5A2
	v_mfma_f32_16x16x32_fp8_fp8 v[104:107], a[164:165], a[108:109], v[104:107]// 000000008CDC: D3F30068 1DA2D9A4
	buffer_load_dword v73, s[20:23], 0 offen lds               // 000000008CE4: E0511000 80050049
	s_add_u32 m0, 0x600, s49                                   // 000000008CEC: 807C31FF 00000600
	v_mfma_f32_16x16x32_fp8_fp8 v[104:107], a[166:167], a[110:111], v[104:107]// 000000008CF4: D3F30068 1DA2DDA6
	v_mfma_f32_16x16x32_fp8_fp8 v[108:111], a[160:161], a[112:113], v[108:111]// 000000008CFC: D3F3006C 1DB2E1A0
	buffer_load_dword v74, s[20:23], 0 offen lds               // 000000008D04: E0511000 8005004A
	s_add_u32 m0, 0x700, s49                                   // 000000008D0C: 807C31FF 00000700
	v_mfma_f32_16x16x32_fp8_fp8 v[108:111], a[162:163], a[114:115], v[108:111]// 000000008D14: D3F3006C 1DB2E5A2
	v_mfma_f32_16x16x32_fp8_fp8 v[108:111], a[164:165], a[116:117], v[108:111]// 000000008D1C: D3F3006C 1DB2E9A4
	buffer_load_dword v75, s[20:23], 0 offen lds               // 000000008D24: E0511000 8005004B
	s_add_u32 m0, 0x800, s49                                   // 000000008D2C: 807C31FF 00000800
	v_mfma_f32_16x16x32_fp8_fp8 v[108:111], a[166:167], a[118:119], v[108:111]// 000000008D34: D3F3006C 1DB2EDA6
	v_mfma_f32_16x16x32_fp8_fp8 v[112:115], a[160:161], a[120:121], v[112:115]// 000000008D3C: D3F30070 1DC2F1A0
	buffer_load_dword v76, s[20:23], 0 offen lds               // 000000008D44: E0511000 8005004C
	s_add_u32 m0, 0x900, s49                                   // 000000008D4C: 807C31FF 00000900
	v_mfma_f32_16x16x32_fp8_fp8 v[112:115], a[162:163], a[122:123], v[112:115]// 000000008D54: D3F30070 1DC2F5A2
	v_mfma_f32_16x16x32_fp8_fp8 v[112:115], a[164:165], a[124:125], v[112:115]// 000000008D5C: D3F30070 1DC2F9A4
	buffer_load_dword v77, s[20:23], 0 offen lds               // 000000008D64: E0511000 8005004D
	s_add_u32 m0, 0xa00, s49                                   // 000000008D6C: 807C31FF 00000A00
	v_mfma_f32_16x16x32_fp8_fp8 v[112:115], a[166:167], a[126:127], v[112:115]// 000000008D74: D3F30070 1DC2FDA6
	v_mfma_f32_16x16x32_fp8_fp8 v[116:119], a[160:161], a[128:129], v[116:119]// 000000008D7C: D3F30074 1DD301A0
	buffer_load_dword v78, s[20:23], 0 offen lds               // 000000008D84: E0511000 8005004E
	s_add_u32 m0, 0xb00, s49                                   // 000000008D8C: 807C31FF 00000B00
	v_mfma_f32_16x16x32_fp8_fp8 v[116:119], a[162:163], a[130:131], v[116:119]// 000000008D94: D3F30074 1DD305A2
	v_mfma_f32_16x16x32_fp8_fp8 v[116:119], a[164:165], a[132:133], v[116:119]// 000000008D9C: D3F30074 1DD309A4
	buffer_load_dword v79, s[20:23], 0 offen lds               // 000000008DA4: E0511000 8005004F
	s_add_u32 m0, 0xc00, s49                                   // 000000008DAC: 807C31FF 00000C00
	v_mfma_f32_16x16x32_fp8_fp8 v[116:119], a[166:167], a[134:135], v[116:119]// 000000008DB4: D3F30074 1DD30DA6
	v_mfma_f32_16x16x32_fp8_fp8 v[120:123], a[160:161], a[136:137], v[120:123]// 000000008DBC: D3F30078 1DE311A0
	buffer_load_dword v80, s[20:23], 0 offen lds               // 000000008DC4: E0511000 80050050
	s_add_u32 m0, 0xd00, s49                                   // 000000008DCC: 807C31FF 00000D00
	v_mfma_f32_16x16x32_fp8_fp8 v[120:123], a[162:163], a[138:139], v[120:123]// 000000008DD4: D3F30078 1DE315A2
	v_mfma_f32_16x16x32_fp8_fp8 v[120:123], a[164:165], a[140:141], v[120:123]// 000000008DDC: D3F30078 1DE319A4
	buffer_load_dword v81, s[20:23], 0 offen lds               // 000000008DE4: E0511000 80050051
	s_add_u32 m0, 0xe00, s49                                   // 000000008DEC: 807C31FF 00000E00
	v_mfma_f32_16x16x32_fp8_fp8 v[120:123], a[166:167], a[142:143], v[120:123]// 000000008DF4: D3F30078 1DE31DA6
	v_mfma_f32_16x16x32_fp8_fp8 v[124:127], a[160:161], a[144:145], v[124:127]// 000000008DFC: D3F3007C 1DF321A0
	buffer_load_dword v82, s[20:23], 0 offen lds               // 000000008E04: E0511000 80050052
	s_add_u32 m0, 0xf00, s49                                   // 000000008E0C: 807C31FF 00000F00
	v_mfma_f32_16x16x32_fp8_fp8 v[124:127], a[162:163], a[146:147], v[124:127]// 000000008E14: D3F3007C 1DF325A2
	v_mfma_f32_16x16x32_fp8_fp8 v[124:127], a[164:165], a[148:149], v[124:127]// 000000008E1C: D3F3007C 1DF329A4
	buffer_load_dword v83, s[20:23], 0 offen lds               // 000000008E24: E0511000 80050053
	s_add_u32 m0, 0x1000, s49                                  // 000000008E2C: 807C31FF 00001000
	v_mfma_f32_16x16x32_fp8_fp8 v[124:127], a[166:167], a[150:151], v[124:127]// 000000008E34: D3F3007C 1DF32DA6
	v_mfma_f32_16x16x32_fp8_fp8 v[128:131], a[160:161], a[152:153], v[128:131]// 000000008E3C: D3F30080 1E0331A0
	buffer_load_dword v84, s[20:23], 0 offen lds               // 000000008E44: E0511000 80050054
	s_add_u32 m0, 0x1100, s49                                  // 000000008E4C: 807C31FF 00001100
	v_mfma_f32_16x16x32_fp8_fp8 v[128:131], a[162:163], a[154:155], v[128:131]// 000000008E54: D3F30080 1E0335A2
	s_add_u32 s60, 0x80, s80                                   // 000000008E5C: 803C50FF 00000080
	s_cmp_lt_u32 s60, s81                                      // 000000008E64: BF0A513C
	s_cselect_b32 s83, s83, 0                                  // 000000008E68: 85538053
	v_mfma_f32_16x16x32_fp8_fp8 v[128:131], a[164:165], a[156:157], v[128:131]// 000000008E6C: D3F30080 1E0339A4
	buffer_load_dword v85, s[20:23], 0 offen lds               // 000000008E74: E0511000 80050055
	s_add_u32 m0, 0x1200, s49                                  // 000000008E7C: 807C31FF 00001200
	v_mfma_f32_16x16x32_fp8_fp8 v[128:131], a[166:167], a[158:159], v[128:131]// 000000008E84: D3F30080 1E033DA6
	buffer_load_dword v86, s[20:23], 0 offen lds               // 000000008E8C: E0511000 80050056
	s_add_u32 m0, 0x1300, s49                                  // 000000008E94: 807C31FF 00001300
	buffer_load_dword v87, s[20:23], 0 offen lds               // 000000008E9C: E0511000 80050057
	s_add_u32 m0, 0, s48                                       // 000000008EA4: 807C3080
	s_waitcnt vmcnt(20)                                        // 000000008EA8: BF8C4F74
	v_mfma_f32_16x16x32_fp8_fp8 v[132:135], a[168:169], a[80:81], v[132:135]// 000000008EAC: D3F30084 1E12A1A8
	buffer_load_dwordx4 a[160:163], v88, s[24:27], 0 offen     // 000000008EB4: E05C1000 8086A058
	v_mfma_f32_16x16x32_fp8_fp8 v[132:135], a[170:171], a[82:83], v[132:135]// 000000008EBC: D3F30084 1E12A5AA
	v_mfma_f32_16x16x32_fp8_fp8 v[132:135], a[172:173], a[84:85], v[132:135]// 000000008EC4: D3F30084 1E12A9AC
	ds_read_b128 a[0:3], v2                                    // 000000008ECC: DBFE0000 00000002
	ds_read_b128 a[4:7], v2 offset:64                          // 000000008ED4: DBFE0040 04000002
	v_mfma_f32_16x16x32_fp8_fp8 v[132:135], a[174:175], a[86:87], v[132:135]// 000000008EDC: D3F30084 1E12ADAE
	v_mfma_f32_16x16x32_fp8_fp8 v[136:139], a[168:169], a[88:89], v[136:139]// 000000008EE4: D3F30088 1E22B1A8
	buffer_load_dwordx4 a[164:167], v88, s[24:27], 0 offen offset:1024// 000000008EEC: E05C1400 8086A458
	v_mfma_f32_16x16x32_fp8_fp8 v[136:139], a[170:171], a[90:91], v[136:139]// 000000008EF4: D3F30088 1E22B5AA
	v_mfma_f32_16x16x32_fp8_fp8 v[136:139], a[172:173], a[92:93], v[136:139]// 000000008EFC: D3F30088 1E22B9AC
	ds_read_b128 a[8:11], v2 offset:512                        // 000000008F04: DBFE0200 08000002
	ds_read_b128 a[12:15], v2 offset:576                       // 000000008F0C: DBFE0240 0C000002
	v_mfma_f32_16x16x32_fp8_fp8 v[136:139], a[174:175], a[94:95], v[136:139]// 000000008F14: D3F30088 1E22BDAE
	v_mfma_f32_16x16x32_fp8_fp8 v[140:143], a[168:169], a[96:97], v[140:143]// 000000008F1C: D3F3008C 1E32C1A8
	v_mfma_f32_16x16x32_fp8_fp8 v[140:143], a[170:171], a[98:99], v[140:143]// 000000008F24: D3F3008C 1E32C5AA
	v_mfma_f32_16x16x32_fp8_fp8 v[140:143], a[172:173], a[100:101], v[140:143]// 000000008F2C: D3F3008C 1E32C9AC
	ds_read_b128 a[16:19], v2 offset:1024                      // 000000008F34: DBFE0400 10000002
	ds_read_b128 a[20:23], v2 offset:1088                      // 000000008F3C: DBFE0440 14000002
	v_mfma_f32_16x16x32_fp8_fp8 v[140:143], a[174:175], a[102:103], v[140:143]// 000000008F44: D3F3008C 1E32CDAE
	v_mfma_f32_16x16x32_fp8_fp8 v[144:147], a[168:169], a[104:105], v[144:147]// 000000008F4C: D3F30090 1E42D1A8
	v_mfma_f32_16x16x32_fp8_fp8 v[144:147], a[170:171], a[106:107], v[144:147]// 000000008F54: D3F30090 1E42D5AA
	v_mfma_f32_16x16x32_fp8_fp8 v[144:147], a[172:173], a[108:109], v[144:147]// 000000008F5C: D3F30090 1E42D9AC
	ds_read_b128 a[24:27], v2 offset:1536                      // 000000008F64: DBFE0600 18000002
	ds_read_b128 a[28:31], v2 offset:1600                      // 000000008F6C: DBFE0640 1C000002
	v_mfma_f32_16x16x32_fp8_fp8 v[144:147], a[174:175], a[110:111], v[144:147]// 000000008F74: D3F30090 1E42DDAE
	v_mfma_f32_16x16x32_fp8_fp8 v[148:151], a[168:169], a[112:113], v[148:151]// 000000008F7C: D3F30094 1E52E1A8
	v_mfma_f32_16x16x32_fp8_fp8 v[148:151], a[170:171], a[114:115], v[148:151]// 000000008F84: D3F30094 1E52E5AA
	v_mfma_f32_16x16x32_fp8_fp8 v[148:151], a[172:173], a[116:117], v[148:151]// 000000008F8C: D3F30094 1E52E9AC
	ds_read_b128 a[32:35], v2 offset:2048                      // 000000008F94: DBFE0800 20000002
	ds_read_b128 a[36:39], v2 offset:2112                      // 000000008F9C: DBFE0840 24000002
	v_mfma_f32_16x16x32_fp8_fp8 v[148:151], a[174:175], a[118:119], v[148:151]// 000000008FA4: D3F30094 1E52EDAE
	v_mfma_f32_16x16x32_fp8_fp8 v[152:155], a[168:169], a[120:121], v[152:155]// 000000008FAC: D3F30098 1E62F1A8
	v_mfma_f32_16x16x32_fp8_fp8 v[152:155], a[170:171], a[122:123], v[152:155]// 000000008FB4: D3F30098 1E62F5AA
	v_mfma_f32_16x16x32_fp8_fp8 v[152:155], a[172:173], a[124:125], v[152:155]// 000000008FBC: D3F30098 1E62F9AC
	ds_read_b128 a[40:43], v2 offset:2560                      // 000000008FC4: DBFE0A00 28000002
	ds_read_b128 a[44:47], v2 offset:2624                      // 000000008FCC: DBFE0A40 2C000002
	v_mfma_f32_16x16x32_fp8_fp8 v[152:155], a[174:175], a[126:127], v[152:155]// 000000008FD4: D3F30098 1E62FDAE
	v_mfma_f32_16x16x32_fp8_fp8 v[156:159], a[168:169], a[128:129], v[156:159]// 000000008FDC: D3F3009C 1E7301A8
	v_mfma_f32_16x16x32_fp8_fp8 v[156:159], a[170:171], a[130:131], v[156:159]// 000000008FE4: D3F3009C 1E7305AA
	v_mfma_f32_16x16x32_fp8_fp8 v[156:159], a[172:173], a[132:133], v[156:159]// 000000008FEC: D3F3009C 1E7309AC
	ds_read_b128 a[48:51], v2 offset:3072                      // 000000008FF4: DBFE0C00 30000002
	ds_read_b128 a[52:55], v2 offset:3136                      // 000000008FFC: DBFE0C40 34000002
	v_mfma_f32_16x16x32_fp8_fp8 v[156:159], a[174:175], a[134:135], v[156:159]// 000000009004: D3F3009C 1E730DAE
	v_mfma_f32_16x16x32_fp8_fp8 v[160:163], a[168:169], a[136:137], v[160:163]// 00000000900C: D3F300A0 1E8311A8
	v_mfma_f32_16x16x32_fp8_fp8 v[160:163], a[170:171], a[138:139], v[160:163]// 000000009014: D3F300A0 1E8315AA
	v_mfma_f32_16x16x32_fp8_fp8 v[160:163], a[172:173], a[140:141], v[160:163]// 00000000901C: D3F300A0 1E8319AC
	ds_read_b128 a[56:59], v2 offset:3584                      // 000000009024: DBFE0E00 38000002
	ds_read_b128 a[60:63], v2 offset:3648                      // 00000000902C: DBFE0E40 3C000002
	v_mfma_f32_16x16x32_fp8_fp8 v[160:163], a[174:175], a[142:143], v[160:163]// 000000009034: D3F300A0 1E831DAE
	v_mfma_f32_16x16x32_fp8_fp8 v[164:167], a[168:169], a[144:145], v[164:167]// 00000000903C: D3F300A4 1E9321A8
	v_mfma_f32_16x16x32_fp8_fp8 v[164:167], a[170:171], a[146:147], v[164:167]// 000000009044: D3F300A4 1E9325AA
	v_mfma_f32_16x16x32_fp8_fp8 v[164:167], a[172:173], a[148:149], v[164:167]// 00000000904C: D3F300A4 1E9329AC
	ds_read_b128 a[64:67], v2 offset:4096                      // 000000009054: DBFE1000 40000002
	ds_read_b128 a[68:71], v2 offset:4160                      // 00000000905C: DBFE1040 44000002
	s_add_u32 s60, 0x180, s80                                  // 000000009064: 803C50FF 00000180
	s_cmp_lt_u32 s60, s81                                      // 00000000906C: BF0A513C
	s_cselect_b32 s57, s57, 0                                  // 000000009070: 85398039
	v_mfma_f32_16x16x32_fp8_fp8 v[164:167], a[174:175], a[150:151], v[164:167]// 000000009074: D3F300A4 1E932DAE
	s_add_u32 s60, 0x100, s80                                  // 00000000907C: 803C50FF 00000100
	s_cmp_lt_u32 s60, s81                                      // 000000009084: BF0A513C
	s_cselect_b32 s58, s58, 0                                  // 000000009088: 853A803A
	v_mfma_f32_16x16x32_fp8_fp8 v[168:171], a[168:169], a[152:153], v[168:171]// 00000000908C: D3F300A8 1EA331A8
	s_add_u32 s24, s58, s24                                    // 000000009094: 8018183A
	s_addc_u32 s25, 0, s25                                     // 000000009098: 82191980
	v_mfma_f32_16x16x32_fp8_fp8 v[168:171], a[170:171], a[154:155], v[168:171]// 00000000909C: D3F300A8 1EA335AA
	s_add_u32 s20, s57, s20                                    // 0000000090A4: 80141439
	s_addc_u32 s21, 0, s21                                     // 0000000090A8: 82151580
	v_mfma_f32_16x16x32_fp8_fp8 v[168:171], a[172:173], a[156:157], v[168:171]// 0000000090AC: D3F300A8 1EA339AC
	ds_read_b128 a[72:75], v2 offset:4608                      // 0000000090B4: DBFE1200 48000002
	ds_read_b128 a[76:79], v2 offset:4672                      // 0000000090BC: DBFE1240 4C000002
	s_add_u32 s84, s83, s84                                    // 0000000090C4: 80545453
	s_addc_u32 s85, 0, s85                                     // 0000000090C8: 82555580
	v_mfma_f32_16x16x32_fp8_fp8 v[168:171], a[174:175], a[158:159], v[168:171]// 0000000090CC: D3F300A8 1EA33DAE
	s_addk_i32 s80, 0x80                                       // 0000000090D4: B7500080
	s_cmp_lt_i32 s80, s81                                      // 0000000090D8: BF045150
	s_cbranch_scc0 label_19BC                                  // 0000000090DC: BF840001
	s_branch label_174D                                        // 0000000090E0: BF82FD91

00000000000090e4 <label_19BC>:
	v_mul_f32_dpp v92, v24, v92 row_newbcast:0 row_mask:0xf bank_mask:0xf// 0000000090E4: 0AB8B8FA FF015018
	v_mul_f32_dpp v93, v24, v93 row_newbcast:1 row_mask:0xf bank_mask:0xf// 0000000090EC: 0ABABAFA FF015118
	v_mul_f32_dpp v94, v24, v94 row_newbcast:2 row_mask:0xf bank_mask:0xf// 0000000090F4: 0ABCBCFA FF015218
	v_mul_f32_dpp v95, v24, v95 row_newbcast:3 row_mask:0xf bank_mask:0xf// 0000000090FC: 0ABEBEFA FF015318
	v_mul_f32_dpp v96, v24, v96 row_newbcast:0 row_mask:0xf bank_mask:0xf// 000000009104: 0AC0C0FA FF015018
	v_mul_f32_dpp v97, v24, v97 row_newbcast:1 row_mask:0xf bank_mask:0xf// 00000000910C: 0AC2C2FA FF015118
	v_mul_f32_dpp v98, v24, v98 row_newbcast:2 row_mask:0xf bank_mask:0xf// 000000009114: 0AC4C4FA FF015218
	v_mul_f32_dpp v99, v24, v99 row_newbcast:3 row_mask:0xf bank_mask:0xf// 00000000911C: 0AC6C6FA FF015318
	v_mul_f32_dpp v100, v24, v100 row_newbcast:0 row_mask:0xf bank_mask:0xf// 000000009124: 0AC8C8FA FF015018
	v_mul_f32_dpp v101, v24, v101 row_newbcast:1 row_mask:0xf bank_mask:0xf// 00000000912C: 0ACACAFA FF015118
	v_mul_f32_dpp v102, v24, v102 row_newbcast:2 row_mask:0xf bank_mask:0xf// 000000009134: 0ACCCCFA FF015218
	v_mul_f32_dpp v103, v24, v103 row_newbcast:3 row_mask:0xf bank_mask:0xf// 00000000913C: 0ACECEFA FF015318
	v_mul_f32_dpp v104, v24, v104 row_newbcast:0 row_mask:0xf bank_mask:0xf// 000000009144: 0AD0D0FA FF015018
	v_mul_f32_dpp v105, v24, v105 row_newbcast:1 row_mask:0xf bank_mask:0xf// 00000000914C: 0AD2D2FA FF015118
	v_mul_f32_dpp v106, v24, v106 row_newbcast:2 row_mask:0xf bank_mask:0xf// 000000009154: 0AD4D4FA FF015218
	v_mul_f32_dpp v107, v24, v107 row_newbcast:3 row_mask:0xf bank_mask:0xf// 00000000915C: 0AD6D6FA FF015318
	v_mul_f32_dpp v108, v24, v108 row_newbcast:0 row_mask:0xf bank_mask:0xf// 000000009164: 0AD8D8FA FF015018
	v_mul_f32_dpp v109, v24, v109 row_newbcast:1 row_mask:0xf bank_mask:0xf// 00000000916C: 0ADADAFA FF015118
	v_mul_f32_dpp v110, v24, v110 row_newbcast:2 row_mask:0xf bank_mask:0xf// 000000009174: 0ADCDCFA FF015218
	v_mul_f32_dpp v111, v24, v111 row_newbcast:3 row_mask:0xf bank_mask:0xf// 00000000917C: 0ADEDEFA FF015318
	v_mul_f32_dpp v112, v24, v112 row_newbcast:0 row_mask:0xf bank_mask:0xf// 000000009184: 0AE0E0FA FF015018
	v_mul_f32_dpp v113, v24, v113 row_newbcast:1 row_mask:0xf bank_mask:0xf// 00000000918C: 0AE2E2FA FF015118
	v_mul_f32_dpp v114, v24, v114 row_newbcast:2 row_mask:0xf bank_mask:0xf// 000000009194: 0AE4E4FA FF015218
	v_mul_f32_dpp v115, v24, v115 row_newbcast:3 row_mask:0xf bank_mask:0xf// 00000000919C: 0AE6E6FA FF015318
	v_mul_f32_dpp v116, v24, v116 row_newbcast:0 row_mask:0xf bank_mask:0xf// 0000000091A4: 0AE8E8FA FF015018
	v_mul_f32_dpp v117, v24, v117 row_newbcast:1 row_mask:0xf bank_mask:0xf// 0000000091AC: 0AEAEAFA FF015118
	v_mul_f32_dpp v118, v24, v118 row_newbcast:2 row_mask:0xf bank_mask:0xf// 0000000091B4: 0AECECFA FF015218
	v_mul_f32_dpp v119, v24, v119 row_newbcast:3 row_mask:0xf bank_mask:0xf// 0000000091BC: 0AEEEEFA FF015318
	v_mul_f32_dpp v120, v24, v120 row_newbcast:0 row_mask:0xf bank_mask:0xf// 0000000091C4: 0AF0F0FA FF015018
	v_mul_f32_dpp v121, v24, v121 row_newbcast:1 row_mask:0xf bank_mask:0xf// 0000000091CC: 0AF2F2FA FF015118
	v_mul_f32_dpp v122, v24, v122 row_newbcast:2 row_mask:0xf bank_mask:0xf// 0000000091D4: 0AF4F4FA FF015218
	v_mul_f32_dpp v123, v24, v123 row_newbcast:3 row_mask:0xf bank_mask:0xf// 0000000091DC: 0AF6F6FA FF015318
	v_mul_f32_dpp v124, v24, v124 row_newbcast:0 row_mask:0xf bank_mask:0xf// 0000000091E4: 0AF8F8FA FF015018
	v_mul_f32_dpp v125, v24, v125 row_newbcast:1 row_mask:0xf bank_mask:0xf// 0000000091EC: 0AFAFAFA FF015118
	v_mul_f32_dpp v126, v24, v126 row_newbcast:2 row_mask:0xf bank_mask:0xf// 0000000091F4: 0AFCFCFA FF015218
	v_mul_f32_dpp v127, v24, v127 row_newbcast:3 row_mask:0xf bank_mask:0xf// 0000000091FC: 0AFEFEFA FF015318
	v_mul_f32_dpp v128, v24, v128 row_newbcast:0 row_mask:0xf bank_mask:0xf// 000000009204: 0B0100FA FF015018
	v_mul_f32_dpp v129, v24, v129 row_newbcast:1 row_mask:0xf bank_mask:0xf// 00000000920C: 0B0302FA FF015118
	v_mul_f32_dpp v130, v24, v130 row_newbcast:2 row_mask:0xf bank_mask:0xf// 000000009214: 0B0504FA FF015218
	v_mul_f32_dpp v131, v24, v131 row_newbcast:3 row_mask:0xf bank_mask:0xf// 00000000921C: 0B0706FA FF015318
	v_mul_f32_dpp v132, v26, v132 row_newbcast:0 row_mask:0xf bank_mask:0xf// 000000009224: 0B0908FA FF01501A
	v_mul_f32_dpp v133, v26, v133 row_newbcast:1 row_mask:0xf bank_mask:0xf// 00000000922C: 0B0B0AFA FF01511A
	v_mul_f32_dpp v134, v26, v134 row_newbcast:2 row_mask:0xf bank_mask:0xf// 000000009234: 0B0D0CFA FF01521A
	v_mul_f32_dpp v135, v26, v135 row_newbcast:3 row_mask:0xf bank_mask:0xf// 00000000923C: 0B0F0EFA FF01531A
	v_mul_f32_dpp v136, v26, v136 row_newbcast:0 row_mask:0xf bank_mask:0xf// 000000009244: 0B1110FA FF01501A
	v_mul_f32_dpp v137, v26, v137 row_newbcast:1 row_mask:0xf bank_mask:0xf// 00000000924C: 0B1312FA FF01511A
	v_mul_f32_dpp v138, v26, v138 row_newbcast:2 row_mask:0xf bank_mask:0xf// 000000009254: 0B1514FA FF01521A
	v_mul_f32_dpp v139, v26, v139 row_newbcast:3 row_mask:0xf bank_mask:0xf// 00000000925C: 0B1716FA FF01531A
	v_mul_f32_dpp v140, v26, v140 row_newbcast:0 row_mask:0xf bank_mask:0xf// 000000009264: 0B1918FA FF01501A
	v_mul_f32_dpp v141, v26, v141 row_newbcast:1 row_mask:0xf bank_mask:0xf// 00000000926C: 0B1B1AFA FF01511A
	v_mul_f32_dpp v142, v26, v142 row_newbcast:2 row_mask:0xf bank_mask:0xf// 000000009274: 0B1D1CFA FF01521A
	v_mul_f32_dpp v143, v26, v143 row_newbcast:3 row_mask:0xf bank_mask:0xf// 00000000927C: 0B1F1EFA FF01531A
	v_mul_f32_dpp v144, v26, v144 row_newbcast:0 row_mask:0xf bank_mask:0xf// 000000009284: 0B2120FA FF01501A
	v_mul_f32_dpp v145, v26, v145 row_newbcast:1 row_mask:0xf bank_mask:0xf// 00000000928C: 0B2322FA FF01511A
	v_mul_f32_dpp v146, v26, v146 row_newbcast:2 row_mask:0xf bank_mask:0xf// 000000009294: 0B2524FA FF01521A
	v_mul_f32_dpp v147, v26, v147 row_newbcast:3 row_mask:0xf bank_mask:0xf// 00000000929C: 0B2726FA FF01531A
	v_mul_f32_dpp v148, v26, v148 row_newbcast:0 row_mask:0xf bank_mask:0xf// 0000000092A4: 0B2928FA FF01501A
	v_mul_f32_dpp v149, v26, v149 row_newbcast:1 row_mask:0xf bank_mask:0xf// 0000000092AC: 0B2B2AFA FF01511A
	v_mul_f32_dpp v150, v26, v150 row_newbcast:2 row_mask:0xf bank_mask:0xf// 0000000092B4: 0B2D2CFA FF01521A
	v_mul_f32_dpp v151, v26, v151 row_newbcast:3 row_mask:0xf bank_mask:0xf// 0000000092BC: 0B2F2EFA FF01531A
	v_mul_f32_dpp v152, v26, v152 row_newbcast:0 row_mask:0xf bank_mask:0xf// 0000000092C4: 0B3130FA FF01501A
	v_mul_f32_dpp v153, v26, v153 row_newbcast:1 row_mask:0xf bank_mask:0xf// 0000000092CC: 0B3332FA FF01511A
	v_mul_f32_dpp v154, v26, v154 row_newbcast:2 row_mask:0xf bank_mask:0xf// 0000000092D4: 0B3534FA FF01521A
	v_mul_f32_dpp v155, v26, v155 row_newbcast:3 row_mask:0xf bank_mask:0xf// 0000000092DC: 0B3736FA FF01531A
	v_mul_f32_dpp v156, v26, v156 row_newbcast:0 row_mask:0xf bank_mask:0xf// 0000000092E4: 0B3938FA FF01501A
	v_mul_f32_dpp v157, v26, v157 row_newbcast:1 row_mask:0xf bank_mask:0xf// 0000000092EC: 0B3B3AFA FF01511A
	v_mul_f32_dpp v158, v26, v158 row_newbcast:2 row_mask:0xf bank_mask:0xf// 0000000092F4: 0B3D3CFA FF01521A
	v_mul_f32_dpp v159, v26, v159 row_newbcast:3 row_mask:0xf bank_mask:0xf// 0000000092FC: 0B3F3EFA FF01531A
	v_mul_f32_dpp v160, v26, v160 row_newbcast:0 row_mask:0xf bank_mask:0xf// 000000009304: 0B4140FA FF01501A
	v_mul_f32_dpp v161, v26, v161 row_newbcast:1 row_mask:0xf bank_mask:0xf// 00000000930C: 0B4342FA FF01511A
	v_mul_f32_dpp v162, v26, v162 row_newbcast:2 row_mask:0xf bank_mask:0xf// 000000009314: 0B4544FA FF01521A
	v_mul_f32_dpp v163, v26, v163 row_newbcast:3 row_mask:0xf bank_mask:0xf// 00000000931C: 0B4746FA FF01531A
	v_mul_f32_dpp v164, v26, v164 row_newbcast:0 row_mask:0xf bank_mask:0xf// 000000009324: 0B4948FA FF01501A
	v_mul_f32_dpp v165, v26, v165 row_newbcast:1 row_mask:0xf bank_mask:0xf// 00000000932C: 0B4B4AFA FF01511A
	v_mul_f32_dpp v166, v26, v166 row_newbcast:2 row_mask:0xf bank_mask:0xf// 000000009334: 0B4D4CFA FF01521A
	v_mul_f32_dpp v167, v26, v167 row_newbcast:3 row_mask:0xf bank_mask:0xf// 00000000933C: 0B4F4EFA FF01531A
	v_mul_f32_dpp v168, v26, v168 row_newbcast:0 row_mask:0xf bank_mask:0xf// 000000009344: 0B5150FA FF01501A
	v_mul_f32_dpp v169, v26, v169 row_newbcast:1 row_mask:0xf bank_mask:0xf// 00000000934C: 0B5352FA FF01511A
	v_mul_f32_dpp v170, v26, v170 row_newbcast:2 row_mask:0xf bank_mask:0xf// 000000009354: 0B5554FA FF01521A
	v_mul_f32_dpp v171, v26, v171 row_newbcast:3 row_mask:0xf bank_mask:0xf// 00000000935C: 0B5756FA FF01531A
	v_mul_f32_e32 v38, v38, v172                               // 000000009364: 0A4D5926
	v_mov_b32_e32 v4, v38                                      // 000000009368: 7E080326
	v_mov_b32_e32 v5, v4                                       // 00000000936C: 7E0A0304
	v_pk_mul_f32 v[92:93], v[4:5], v[92:93]                    // 000000009370: D3B1405C 1802B904
	v_pk_mul_f32 v[132:133], v[4:5], v[132:133]                // 000000009378: D3B14084 18030904
	v_pk_mul_f32 v[94:95], v[4:5], v[94:95]                    // 000000009380: D3B1405E 1802BD04
	v_pk_mul_f32 v[134:135], v[4:5], v[134:135]                // 000000009388: D3B14086 18030D04
	v_mul_f32_e32 v39, v39, v173                               // 000000009390: 0A4F5B27
	v_mov_b32_e32 v4, v39                                      // 000000009394: 7E080327
	v_mov_b32_e32 v5, v4                                       // 000000009398: 7E0A0304
	v_pk_mul_f32 v[96:97], v[4:5], v[96:97]                    // 00000000939C: D3B14060 1802C104
	v_pk_mul_f32 v[136:137], v[4:5], v[136:137]                // 0000000093A4: D3B14088 18031104
	v_pk_mul_f32 v[98:99], v[4:5], v[98:99]                    // 0000000093AC: D3B14062 1802C504
	v_pk_mul_f32 v[138:139], v[4:5], v[138:139]                // 0000000093B4: D3B1408A 18031504
	v_mul_f32_e32 v40, v40, v174                               // 0000000093BC: 0A515D28
	v_mov_b32_e32 v4, v40                                      // 0000000093C0: 7E080328
	v_mov_b32_e32 v5, v4                                       // 0000000093C4: 7E0A0304
	v_pk_mul_f32 v[100:101], v[4:5], v[100:101]                // 0000000093C8: D3B14064 1802C904
	v_pk_mul_f32 v[140:141], v[4:5], v[140:141]                // 0000000093D0: D3B1408C 18031904
	v_pk_mul_f32 v[102:103], v[4:5], v[102:103]                // 0000000093D8: D3B14066 1802CD04
	v_pk_mul_f32 v[142:143], v[4:5], v[142:143]                // 0000000093E0: D3B1408E 18031D04
	v_mul_f32_e32 v41, v41, v175                               // 0000000093E8: 0A535F29
	v_mov_b32_e32 v4, v41                                      // 0000000093EC: 7E080329
	v_mov_b32_e32 v5, v4                                       // 0000000093F0: 7E0A0304
	v_pk_mul_f32 v[104:105], v[4:5], v[104:105]                // 0000000093F4: D3B14068 1802D104
	v_pk_mul_f32 v[144:145], v[4:5], v[144:145]                // 0000000093FC: D3B14090 18032104
	v_pk_mul_f32 v[106:107], v[4:5], v[106:107]                // 000000009404: D3B1406A 1802D504
	v_pk_mul_f32 v[146:147], v[4:5], v[146:147]                // 00000000940C: D3B14092 18032504
	v_mul_f32_e32 v42, v42, v176                               // 000000009414: 0A55612A
	v_mov_b32_e32 v4, v42                                      // 000000009418: 7E08032A
	v_mov_b32_e32 v5, v4                                       // 00000000941C: 7E0A0304
	v_pk_mul_f32 v[108:109], v[4:5], v[108:109]                // 000000009420: D3B1406C 1802D904
	v_pk_mul_f32 v[148:149], v[4:5], v[148:149]                // 000000009428: D3B14094 18032904
	v_pk_mul_f32 v[110:111], v[4:5], v[110:111]                // 000000009430: D3B1406E 1802DD04
	v_pk_mul_f32 v[150:151], v[4:5], v[150:151]                // 000000009438: D3B14096 18032D04
	v_mul_f32_e32 v43, v43, v177                               // 000000009440: 0A57632B
	v_mov_b32_e32 v4, v43                                      // 000000009444: 7E08032B
	v_mov_b32_e32 v5, v4                                       // 000000009448: 7E0A0304
	v_pk_mul_f32 v[112:113], v[4:5], v[112:113]                // 00000000944C: D3B14070 1802E104
	v_pk_mul_f32 v[152:153], v[4:5], v[152:153]                // 000000009454: D3B14098 18033104
	v_pk_mul_f32 v[114:115], v[4:5], v[114:115]                // 00000000945C: D3B14072 1802E504
	v_pk_mul_f32 v[154:155], v[4:5], v[154:155]                // 000000009464: D3B1409A 18033504
	v_mul_f32_e32 v44, v44, v178                               // 00000000946C: 0A59652C
	v_mov_b32_e32 v4, v44                                      // 000000009470: 7E08032C
	v_mov_b32_e32 v5, v4                                       // 000000009474: 7E0A0304
	v_pk_mul_f32 v[116:117], v[4:5], v[116:117]                // 000000009478: D3B14074 1802E904
	v_pk_mul_f32 v[156:157], v[4:5], v[156:157]                // 000000009480: D3B1409C 18033904
	v_pk_mul_f32 v[118:119], v[4:5], v[118:119]                // 000000009488: D3B14076 1802ED04
	v_pk_mul_f32 v[158:159], v[4:5], v[158:159]                // 000000009490: D3B1409E 18033D04
	v_mul_f32_e32 v45, v45, v179                               // 000000009498: 0A5B672D
	v_mov_b32_e32 v4, v45                                      // 00000000949C: 7E08032D
	v_mov_b32_e32 v5, v4                                       // 0000000094A0: 7E0A0304
	v_pk_mul_f32 v[120:121], v[4:5], v[120:121]                // 0000000094A4: D3B14078 1802F104
	v_pk_mul_f32 v[160:161], v[4:5], v[160:161]                // 0000000094AC: D3B140A0 18034104
	v_pk_mul_f32 v[122:123], v[4:5], v[122:123]                // 0000000094B4: D3B1407A 1802F504
	v_pk_mul_f32 v[162:163], v[4:5], v[162:163]                // 0000000094BC: D3B140A2 18034504
	v_mul_f32_e32 v46, v46, v180                               // 0000000094C4: 0A5D692E
	v_mov_b32_e32 v4, v46                                      // 0000000094C8: 7E08032E
	v_mov_b32_e32 v5, v4                                       // 0000000094CC: 7E0A0304
	v_pk_mul_f32 v[124:125], v[4:5], v[124:125]                // 0000000094D0: D3B1407C 1802F904
	v_pk_mul_f32 v[164:165], v[4:5], v[164:165]                // 0000000094D8: D3B140A4 18034904
	v_pk_mul_f32 v[126:127], v[4:5], v[126:127]                // 0000000094E0: D3B1407E 1802FD04
	v_pk_mul_f32 v[166:167], v[4:5], v[166:167]                // 0000000094E8: D3B140A6 18034D04
	v_mul_f32_e32 v47, v47, v181                               // 0000000094F0: 0A5F6B2F
	v_mov_b32_e32 v4, v47                                      // 0000000094F4: 7E08032F
	v_mov_b32_e32 v5, v4                                       // 0000000094F8: 7E0A0304
	v_pk_mul_f32 v[128:129], v[4:5], v[128:129]                // 0000000094FC: D3B14080 18030104
	v_pk_mul_f32 v[168:169], v[4:5], v[168:169]                // 000000009504: D3B140A8 18035104
	v_pk_mul_f32 v[130:131], v[4:5], v[130:131]                // 00000000950C: D3B14082 18030504
	v_pk_mul_f32 v[170:171], v[4:5], v[170:171]                // 000000009514: D3B140AA 18035504
	s_cmp_eq_u32 s88, 0                                        // 00000000951C: BF068058
	s_cbranch_scc0 label_2231                                  // 000000009520: BF840765
	s_cmp_eq_u32 s89, 0                                        // 000000009524: BF068059
	s_cbranch_scc1 label_1C63                                  // 000000009528: BF850195
	v_mov_b32_e32 v8, v1                                       // 00000000952C: 7E100301
	v_mov_b32_e32 v9, v1                                       // 000000009530: 7E120301
	s_mov_b32 s60, s6                                          // 000000009534: BEBC0006
	s_mov_b32 s61, s6                                          // 000000009538: BEBD0006
	v_pk_mul_f32 v[4:5], v[92:93], v[92:93]                    // 00000000953C: D3B14004 1802B95C
	v_pk_mul_f32 v[6:7], v[94:95], v[94:95]                    // 000000009544: D3B14006 1802BD5E
	v_pk_fma_f32 v[4:5], v[4:5], s[78:79], v[8:9]              // 00000000954C: D3B04004 1C209D04
	v_pk_fma_f32 v[6:7], v[6:7], s[78:79], v[8:9]              // 000000009554: D3B04006 1C209D06
	v_pk_mul_f32 v[4:5], v[4:5], v[92:93]                      // 00000000955C: D3B14004 1802B904
	v_pk_mul_f32 v[6:7], v[6:7], v[94:95]                      // 000000009564: D3B14006 1802BD06
	v_pk_mul_f32 v[4:5], v[4:5], s[60:61]                      // 00000000956C: D3B14004 18007904
	v_pk_mul_f32 v[6:7], v[6:7], s[60:61]                      // 000000009574: D3B14006 18007906
	v_exp_f32_e32 v4, v4                                       // 00000000957C: 7E084104
	v_exp_f32_e32 v5, v5                                       // 000000009580: 7E0A4105
	v_exp_f32_e32 v6, v6                                       // 000000009584: 7E0C4106
	v_exp_f32_e32 v7, v7                                       // 000000009588: 7E0E4107
	v_add_f32_e64 v4, v4, 1.0                                  // 00000000958C: D1010004 0001E504
	v_add_f32_e64 v5, v5, 1.0                                  // 000000009594: D1010005 0001E505
	v_add_f32_e64 v6, v6, 1.0                                  // 00000000959C: D1010006 0001E506
	v_add_f32_e64 v7, v7, 1.0                                  // 0000000095A4: D1010007 0001E507
	v_rcp_f32_e32 v4, v4                                       // 0000000095AC: 7E084504
	v_rcp_f32_e32 v5, v5                                       // 0000000095B0: 7E0A4505
	v_rcp_f32_e32 v6, v6                                       // 0000000095B4: 7E0C4506
	v_rcp_f32_e32 v7, v7                                       // 0000000095B8: 7E0E4507
	v_mul_f32_e32 v92, v92, v4                                 // 0000000095BC: 0AB8095C
	v_mul_f32_e32 v93, v93, v5                                 // 0000000095C0: 0ABA0B5D
	v_mul_f32_e32 v94, v94, v6                                 // 0000000095C4: 0ABC0D5E
	v_mul_f32_e32 v95, v95, v7                                 // 0000000095C8: 0ABE0F5F
	v_mul_f32_e32 v92, v92, v132                               // 0000000095CC: 0AB9095C
	v_mul_f32_e32 v93, v93, v133                               // 0000000095D0: 0ABB0B5D
	v_mul_f32_e32 v94, v94, v134                               // 0000000095D4: 0ABD0D5E
	v_mul_f32_e32 v95, v95, v135                               // 0000000095D8: 0ABF0F5F
	v_pk_mul_f32 v[4:5], v[96:97], v[96:97]                    // 0000000095DC: D3B14004 1802C160
	v_pk_mul_f32 v[6:7], v[98:99], v[98:99]                    // 0000000095E4: D3B14006 1802C562
	v_pk_fma_f32 v[4:5], v[4:5], s[78:79], v[8:9]              // 0000000095EC: D3B04004 1C209D04
	v_pk_fma_f32 v[6:7], v[6:7], s[78:79], v[8:9]              // 0000000095F4: D3B04006 1C209D06
	v_pk_mul_f32 v[4:5], v[4:5], v[96:97]                      // 0000000095FC: D3B14004 1802C104
	v_pk_mul_f32 v[6:7], v[6:7], v[98:99]                      // 000000009604: D3B14006 1802C506
	v_pk_mul_f32 v[4:5], v[4:5], s[60:61]                      // 00000000960C: D3B14004 18007904
	v_pk_mul_f32 v[6:7], v[6:7], s[60:61]                      // 000000009614: D3B14006 18007906
	v_exp_f32_e32 v4, v4                                       // 00000000961C: 7E084104
	v_exp_f32_e32 v5, v5                                       // 000000009620: 7E0A4105
	v_exp_f32_e32 v6, v6                                       // 000000009624: 7E0C4106
	v_exp_f32_e32 v7, v7                                       // 000000009628: 7E0E4107
	v_add_f32_e64 v4, v4, 1.0                                  // 00000000962C: D1010004 0001E504
	v_add_f32_e64 v5, v5, 1.0                                  // 000000009634: D1010005 0001E505
	v_add_f32_e64 v6, v6, 1.0                                  // 00000000963C: D1010006 0001E506
	v_add_f32_e64 v7, v7, 1.0                                  // 000000009644: D1010007 0001E507
	v_rcp_f32_e32 v4, v4                                       // 00000000964C: 7E084504
	v_rcp_f32_e32 v5, v5                                       // 000000009650: 7E0A4505
	v_rcp_f32_e32 v6, v6                                       // 000000009654: 7E0C4506
	v_rcp_f32_e32 v7, v7                                       // 000000009658: 7E0E4507
	v_mul_f32_e32 v96, v96, v4                                 // 00000000965C: 0AC00960
	v_mul_f32_e32 v97, v97, v5                                 // 000000009660: 0AC20B61
	v_mul_f32_e32 v98, v98, v6                                 // 000000009664: 0AC40D62
	v_mul_f32_e32 v99, v99, v7                                 // 000000009668: 0AC60F63
	v_mul_f32_e32 v96, v96, v136                               // 00000000966C: 0AC11160
	v_mul_f32_e32 v97, v97, v137                               // 000000009670: 0AC31361
	v_mul_f32_e32 v98, v98, v138                               // 000000009674: 0AC51562
	v_mul_f32_e32 v99, v99, v139                               // 000000009678: 0AC71763
	v_pk_mul_f32 v[4:5], v[100:101], v[100:101]                // 00000000967C: D3B14004 1802C964
	v_pk_mul_f32 v[6:7], v[102:103], v[102:103]                // 000000009684: D3B14006 1802CD66
	v_pk_fma_f32 v[4:5], v[4:5], s[78:79], v[8:9]              // 00000000968C: D3B04004 1C209D04
	v_pk_fma_f32 v[6:7], v[6:7], s[78:79], v[8:9]              // 000000009694: D3B04006 1C209D06
	v_pk_mul_f32 v[4:5], v[4:5], v[100:101]                    // 00000000969C: D3B14004 1802C904
	v_pk_mul_f32 v[6:7], v[6:7], v[102:103]                    // 0000000096A4: D3B14006 1802CD06
	v_pk_mul_f32 v[4:5], v[4:5], s[60:61]                      // 0000000096AC: D3B14004 18007904
	v_pk_mul_f32 v[6:7], v[6:7], s[60:61]                      // 0000000096B4: D3B14006 18007906
	v_exp_f32_e32 v4, v4                                       // 0000000096BC: 7E084104
	v_exp_f32_e32 v5, v5                                       // 0000000096C0: 7E0A4105
	v_exp_f32_e32 v6, v6                                       // 0000000096C4: 7E0C4106
	v_exp_f32_e32 v7, v7                                       // 0000000096C8: 7E0E4107
	v_add_f32_e64 v4, v4, 1.0                                  // 0000000096CC: D1010004 0001E504
	v_add_f32_e64 v5, v5, 1.0                                  // 0000000096D4: D1010005 0001E505
	v_add_f32_e64 v6, v6, 1.0                                  // 0000000096DC: D1010006 0001E506
	v_add_f32_e64 v7, v7, 1.0                                  // 0000000096E4: D1010007 0001E507
	v_rcp_f32_e32 v4, v4                                       // 0000000096EC: 7E084504
	v_rcp_f32_e32 v5, v5                                       // 0000000096F0: 7E0A4505
	v_rcp_f32_e32 v6, v6                                       // 0000000096F4: 7E0C4506
	v_rcp_f32_e32 v7, v7                                       // 0000000096F8: 7E0E4507
	v_mul_f32_e32 v100, v100, v4                               // 0000000096FC: 0AC80964
	v_mul_f32_e32 v101, v101, v5                               // 000000009700: 0ACA0B65
	v_mul_f32_e32 v102, v102, v6                               // 000000009704: 0ACC0D66
	v_mul_f32_e32 v103, v103, v7                               // 000000009708: 0ACE0F67
	v_mul_f32_e32 v100, v100, v140                             // 00000000970C: 0AC91964
	v_mul_f32_e32 v101, v101, v141                             // 000000009710: 0ACB1B65
	v_mul_f32_e32 v102, v102, v142                             // 000000009714: 0ACD1D66
	v_mul_f32_e32 v103, v103, v143                             // 000000009718: 0ACF1F67
	v_pk_mul_f32 v[4:5], v[104:105], v[104:105]                // 00000000971C: D3B14004 1802D168
	v_pk_mul_f32 v[6:7], v[106:107], v[106:107]                // 000000009724: D3B14006 1802D56A
	v_pk_fma_f32 v[4:5], v[4:5], s[78:79], v[8:9]              // 00000000972C: D3B04004 1C209D04
	v_pk_fma_f32 v[6:7], v[6:7], s[78:79], v[8:9]              // 000000009734: D3B04006 1C209D06
	v_pk_mul_f32 v[4:5], v[4:5], v[104:105]                    // 00000000973C: D3B14004 1802D104
	v_pk_mul_f32 v[6:7], v[6:7], v[106:107]                    // 000000009744: D3B14006 1802D506
	v_pk_mul_f32 v[4:5], v[4:5], s[60:61]                      // 00000000974C: D3B14004 18007904
	v_pk_mul_f32 v[6:7], v[6:7], s[60:61]                      // 000000009754: D3B14006 18007906
	v_exp_f32_e32 v4, v4                                       // 00000000975C: 7E084104
	v_exp_f32_e32 v5, v5                                       // 000000009760: 7E0A4105
	v_exp_f32_e32 v6, v6                                       // 000000009764: 7E0C4106
	v_exp_f32_e32 v7, v7                                       // 000000009768: 7E0E4107
	v_add_f32_e64 v4, v4, 1.0                                  // 00000000976C: D1010004 0001E504
	v_add_f32_e64 v5, v5, 1.0                                  // 000000009774: D1010005 0001E505
	v_add_f32_e64 v6, v6, 1.0                                  // 00000000977C: D1010006 0001E506
	v_add_f32_e64 v7, v7, 1.0                                  // 000000009784: D1010007 0001E507
	v_rcp_f32_e32 v4, v4                                       // 00000000978C: 7E084504
	v_rcp_f32_e32 v5, v5                                       // 000000009790: 7E0A4505
	v_rcp_f32_e32 v6, v6                                       // 000000009794: 7E0C4506
	v_rcp_f32_e32 v7, v7                                       // 000000009798: 7E0E4507
	v_mul_f32_e32 v104, v104, v4                               // 00000000979C: 0AD00968
	v_mul_f32_e32 v105, v105, v5                               // 0000000097A0: 0AD20B69
	v_mul_f32_e32 v106, v106, v6                               // 0000000097A4: 0AD40D6A
	v_mul_f32_e32 v107, v107, v7                               // 0000000097A8: 0AD60F6B
	v_mul_f32_e32 v104, v104, v144                             // 0000000097AC: 0AD12168
	v_mul_f32_e32 v105, v105, v145                             // 0000000097B0: 0AD32369
	v_mul_f32_e32 v106, v106, v146                             // 0000000097B4: 0AD5256A
	v_mul_f32_e32 v107, v107, v147                             // 0000000097B8: 0AD7276B
	v_pk_mul_f32 v[4:5], v[108:109], v[108:109]                // 0000000097BC: D3B14004 1802D96C
	v_pk_mul_f32 v[6:7], v[110:111], v[110:111]                // 0000000097C4: D3B14006 1802DD6E
	v_pk_fma_f32 v[4:5], v[4:5], s[78:79], v[8:9]              // 0000000097CC: D3B04004 1C209D04
	v_pk_fma_f32 v[6:7], v[6:7], s[78:79], v[8:9]              // 0000000097D4: D3B04006 1C209D06
	v_pk_mul_f32 v[4:5], v[4:5], v[108:109]                    // 0000000097DC: D3B14004 1802D904
	v_pk_mul_f32 v[6:7], v[6:7], v[110:111]                    // 0000000097E4: D3B14006 1802DD06
	v_pk_mul_f32 v[4:5], v[4:5], s[60:61]                      // 0000000097EC: D3B14004 18007904
	v_pk_mul_f32 v[6:7], v[6:7], s[60:61]                      // 0000000097F4: D3B14006 18007906
	v_exp_f32_e32 v4, v4                                       // 0000000097FC: 7E084104
	v_exp_f32_e32 v5, v5                                       // 000000009800: 7E0A4105
	v_exp_f32_e32 v6, v6                                       // 000000009804: 7E0C4106
	v_exp_f32_e32 v7, v7                                       // 000000009808: 7E0E4107
	v_add_f32_e64 v4, v4, 1.0                                  // 00000000980C: D1010004 0001E504
	v_add_f32_e64 v5, v5, 1.0                                  // 000000009814: D1010005 0001E505
	v_add_f32_e64 v6, v6, 1.0                                  // 00000000981C: D1010006 0001E506
	v_add_f32_e64 v7, v7, 1.0                                  // 000000009824: D1010007 0001E507
	v_rcp_f32_e32 v4, v4                                       // 00000000982C: 7E084504
	v_rcp_f32_e32 v5, v5                                       // 000000009830: 7E0A4505
	v_rcp_f32_e32 v6, v6                                       // 000000009834: 7E0C4506
	v_rcp_f32_e32 v7, v7                                       // 000000009838: 7E0E4507
	v_mul_f32_e32 v108, v108, v4                               // 00000000983C: 0AD8096C
	v_mul_f32_e32 v109, v109, v5                               // 000000009840: 0ADA0B6D
	v_mul_f32_e32 v110, v110, v6                               // 000000009844: 0ADC0D6E
	v_mul_f32_e32 v111, v111, v7                               // 000000009848: 0ADE0F6F
	v_mul_f32_e32 v108, v108, v148                             // 00000000984C: 0AD9296C
	v_mul_f32_e32 v109, v109, v149                             // 000000009850: 0ADB2B6D
	v_mul_f32_e32 v110, v110, v150                             // 000000009854: 0ADD2D6E
	v_mul_f32_e32 v111, v111, v151                             // 000000009858: 0ADF2F6F
	v_pk_mul_f32 v[4:5], v[112:113], v[112:113]                // 00000000985C: D3B14004 1802E170
	v_pk_mul_f32 v[6:7], v[114:115], v[114:115]                // 000000009864: D3B14006 1802E572
	v_pk_fma_f32 v[4:5], v[4:5], s[78:79], v[8:9]              // 00000000986C: D3B04004 1C209D04
	v_pk_fma_f32 v[6:7], v[6:7], s[78:79], v[8:9]              // 000000009874: D3B04006 1C209D06
	v_pk_mul_f32 v[4:5], v[4:5], v[112:113]                    // 00000000987C: D3B14004 1802E104
	v_pk_mul_f32 v[6:7], v[6:7], v[114:115]                    // 000000009884: D3B14006 1802E506
	v_pk_mul_f32 v[4:5], v[4:5], s[60:61]                      // 00000000988C: D3B14004 18007904
	v_pk_mul_f32 v[6:7], v[6:7], s[60:61]                      // 000000009894: D3B14006 18007906
	v_exp_f32_e32 v4, v4                                       // 00000000989C: 7E084104
	v_exp_f32_e32 v5, v5                                       // 0000000098A0: 7E0A4105
	v_exp_f32_e32 v6, v6                                       // 0000000098A4: 7E0C4106
	v_exp_f32_e32 v7, v7                                       // 0000000098A8: 7E0E4107
	v_add_f32_e64 v4, v4, 1.0                                  // 0000000098AC: D1010004 0001E504
	v_add_f32_e64 v5, v5, 1.0                                  // 0000000098B4: D1010005 0001E505
	v_add_f32_e64 v6, v6, 1.0                                  // 0000000098BC: D1010006 0001E506
	v_add_f32_e64 v7, v7, 1.0                                  // 0000000098C4: D1010007 0001E507
	v_rcp_f32_e32 v4, v4                                       // 0000000098CC: 7E084504
	v_rcp_f32_e32 v5, v5                                       // 0000000098D0: 7E0A4505
	v_rcp_f32_e32 v6, v6                                       // 0000000098D4: 7E0C4506
	v_rcp_f32_e32 v7, v7                                       // 0000000098D8: 7E0E4507
	v_mul_f32_e32 v112, v112, v4                               // 0000000098DC: 0AE00970
	v_mul_f32_e32 v113, v113, v5                               // 0000000098E0: 0AE20B71
	v_mul_f32_e32 v114, v114, v6                               // 0000000098E4: 0AE40D72
	v_mul_f32_e32 v115, v115, v7                               // 0000000098E8: 0AE60F73
	v_mul_f32_e32 v112, v112, v152                             // 0000000098EC: 0AE13170
	v_mul_f32_e32 v113, v113, v153                             // 0000000098F0: 0AE33371
	v_mul_f32_e32 v114, v114, v154                             // 0000000098F4: 0AE53572
	v_mul_f32_e32 v115, v115, v155                             // 0000000098F8: 0AE73773
	v_pk_mul_f32 v[4:5], v[116:117], v[116:117]                // 0000000098FC: D3B14004 1802E974
	v_pk_mul_f32 v[6:7], v[118:119], v[118:119]                // 000000009904: D3B14006 1802ED76
	v_pk_fma_f32 v[4:5], v[4:5], s[78:79], v[8:9]              // 00000000990C: D3B04004 1C209D04
	v_pk_fma_f32 v[6:7], v[6:7], s[78:79], v[8:9]              // 000000009914: D3B04006 1C209D06
	v_pk_mul_f32 v[4:5], v[4:5], v[116:117]                    // 00000000991C: D3B14004 1802E904
	v_pk_mul_f32 v[6:7], v[6:7], v[118:119]                    // 000000009924: D3B14006 1802ED06
	v_pk_mul_f32 v[4:5], v[4:5], s[60:61]                      // 00000000992C: D3B14004 18007904
	v_pk_mul_f32 v[6:7], v[6:7], s[60:61]                      // 000000009934: D3B14006 18007906
	v_exp_f32_e32 v4, v4                                       // 00000000993C: 7E084104
	v_exp_f32_e32 v5, v5                                       // 000000009940: 7E0A4105
	v_exp_f32_e32 v6, v6                                       // 000000009944: 7E0C4106
	v_exp_f32_e32 v7, v7                                       // 000000009948: 7E0E4107
	v_add_f32_e64 v4, v4, 1.0                                  // 00000000994C: D1010004 0001E504
	v_add_f32_e64 v5, v5, 1.0                                  // 000000009954: D1010005 0001E505
	v_add_f32_e64 v6, v6, 1.0                                  // 00000000995C: D1010006 0001E506
	v_add_f32_e64 v7, v7, 1.0                                  // 000000009964: D1010007 0001E507
	v_rcp_f32_e32 v4, v4                                       // 00000000996C: 7E084504
	v_rcp_f32_e32 v5, v5                                       // 000000009970: 7E0A4505
	v_rcp_f32_e32 v6, v6                                       // 000000009974: 7E0C4506
	v_rcp_f32_e32 v7, v7                                       // 000000009978: 7E0E4507
	v_mul_f32_e32 v116, v116, v4                               // 00000000997C: 0AE80974
	v_mul_f32_e32 v117, v117, v5                               // 000000009980: 0AEA0B75
	v_mul_f32_e32 v118, v118, v6                               // 000000009984: 0AEC0D76
	v_mul_f32_e32 v119, v119, v7                               // 000000009988: 0AEE0F77
	v_mul_f32_e32 v116, v116, v156                             // 00000000998C: 0AE93974
	v_mul_f32_e32 v117, v117, v157                             // 000000009990: 0AEB3B75
	v_mul_f32_e32 v118, v118, v158                             // 000000009994: 0AED3D76
	v_mul_f32_e32 v119, v119, v159                             // 000000009998: 0AEF3F77
	v_pk_mul_f32 v[4:5], v[120:121], v[120:121]                // 00000000999C: D3B14004 1802F178
	v_pk_mul_f32 v[6:7], v[122:123], v[122:123]                // 0000000099A4: D3B14006 1802F57A
	v_pk_fma_f32 v[4:5], v[4:5], s[78:79], v[8:9]              // 0000000099AC: D3B04004 1C209D04
	v_pk_fma_f32 v[6:7], v[6:7], s[78:79], v[8:9]              // 0000000099B4: D3B04006 1C209D06
	v_pk_mul_f32 v[4:5], v[4:5], v[120:121]                    // 0000000099BC: D3B14004 1802F104
	v_pk_mul_f32 v[6:7], v[6:7], v[122:123]                    // 0000000099C4: D3B14006 1802F506
	v_pk_mul_f32 v[4:5], v[4:5], s[60:61]                      // 0000000099CC: D3B14004 18007904
	v_pk_mul_f32 v[6:7], v[6:7], s[60:61]                      // 0000000099D4: D3B14006 18007906
	v_exp_f32_e32 v4, v4                                       // 0000000099DC: 7E084104
	v_exp_f32_e32 v5, v5                                       // 0000000099E0: 7E0A4105
	v_exp_f32_e32 v6, v6                                       // 0000000099E4: 7E0C4106
	v_exp_f32_e32 v7, v7                                       // 0000000099E8: 7E0E4107
	v_add_f32_e64 v4, v4, 1.0                                  // 0000000099EC: D1010004 0001E504
	v_add_f32_e64 v5, v5, 1.0                                  // 0000000099F4: D1010005 0001E505
	v_add_f32_e64 v6, v6, 1.0                                  // 0000000099FC: D1010006 0001E506
	v_add_f32_e64 v7, v7, 1.0                                  // 000000009A04: D1010007 0001E507
	v_rcp_f32_e32 v4, v4                                       // 000000009A0C: 7E084504
	v_rcp_f32_e32 v5, v5                                       // 000000009A10: 7E0A4505
	v_rcp_f32_e32 v6, v6                                       // 000000009A14: 7E0C4506
	v_rcp_f32_e32 v7, v7                                       // 000000009A18: 7E0E4507
	v_mul_f32_e32 v120, v120, v4                               // 000000009A1C: 0AF00978
	v_mul_f32_e32 v121, v121, v5                               // 000000009A20: 0AF20B79
	v_mul_f32_e32 v122, v122, v6                               // 000000009A24: 0AF40D7A
	v_mul_f32_e32 v123, v123, v7                               // 000000009A28: 0AF60F7B
	v_mul_f32_e32 v120, v120, v160                             // 000000009A2C: 0AF14178
	v_mul_f32_e32 v121, v121, v161                             // 000000009A30: 0AF34379
	v_mul_f32_e32 v122, v122, v162                             // 000000009A34: 0AF5457A
	v_mul_f32_e32 v123, v123, v163                             // 000000009A38: 0AF7477B
	v_pk_mul_f32 v[4:5], v[124:125], v[124:125]                // 000000009A3C: D3B14004 1802F97C
	v_pk_mul_f32 v[6:7], v[126:127], v[126:127]                // 000000009A44: D3B14006 1802FD7E
	v_pk_fma_f32 v[4:5], v[4:5], s[78:79], v[8:9]              // 000000009A4C: D3B04004 1C209D04
	v_pk_fma_f32 v[6:7], v[6:7], s[78:79], v[8:9]              // 000000009A54: D3B04006 1C209D06
	v_pk_mul_f32 v[4:5], v[4:5], v[124:125]                    // 000000009A5C: D3B14004 1802F904
	v_pk_mul_f32 v[6:7], v[6:7], v[126:127]                    // 000000009A64: D3B14006 1802FD06
	v_pk_mul_f32 v[4:5], v[4:5], s[60:61]                      // 000000009A6C: D3B14004 18007904
	v_pk_mul_f32 v[6:7], v[6:7], s[60:61]                      // 000000009A74: D3B14006 18007906
	v_exp_f32_e32 v4, v4                                       // 000000009A7C: 7E084104
	v_exp_f32_e32 v5, v5                                       // 000000009A80: 7E0A4105
	v_exp_f32_e32 v6, v6                                       // 000000009A84: 7E0C4106
	v_exp_f32_e32 v7, v7                                       // 000000009A88: 7E0E4107
	v_add_f32_e64 v4, v4, 1.0                                  // 000000009A8C: D1010004 0001E504
	v_add_f32_e64 v5, v5, 1.0                                  // 000000009A94: D1010005 0001E505
	v_add_f32_e64 v6, v6, 1.0                                  // 000000009A9C: D1010006 0001E506
	v_add_f32_e64 v7, v7, 1.0                                  // 000000009AA4: D1010007 0001E507
	v_rcp_f32_e32 v4, v4                                       // 000000009AAC: 7E084504
	v_rcp_f32_e32 v5, v5                                       // 000000009AB0: 7E0A4505
	v_rcp_f32_e32 v6, v6                                       // 000000009AB4: 7E0C4506
	v_rcp_f32_e32 v7, v7                                       // 000000009AB8: 7E0E4507
	v_mul_f32_e32 v124, v124, v4                               // 000000009ABC: 0AF8097C
	v_mul_f32_e32 v125, v125, v5                               // 000000009AC0: 0AFA0B7D
	v_mul_f32_e32 v126, v126, v6                               // 000000009AC4: 0AFC0D7E
	v_mul_f32_e32 v127, v127, v7                               // 000000009AC8: 0AFE0F7F
	v_mul_f32_e32 v124, v124, v164                             // 000000009ACC: 0AF9497C
	v_mul_f32_e32 v125, v125, v165                             // 000000009AD0: 0AFB4B7D
	v_mul_f32_e32 v126, v126, v166                             // 000000009AD4: 0AFD4D7E
	v_mul_f32_e32 v127, v127, v167                             // 000000009AD8: 0AFF4F7F
	v_pk_mul_f32 v[4:5], v[128:129], v[128:129]                // 000000009ADC: D3B14004 18030180
	v_pk_mul_f32 v[6:7], v[130:131], v[130:131]                // 000000009AE4: D3B14006 18030582
	v_pk_fma_f32 v[4:5], v[4:5], s[78:79], v[8:9]              // 000000009AEC: D3B04004 1C209D04
	v_pk_fma_f32 v[6:7], v[6:7], s[78:79], v[8:9]              // 000000009AF4: D3B04006 1C209D06
	v_pk_mul_f32 v[4:5], v[4:5], v[128:129]                    // 000000009AFC: D3B14004 18030104
	v_pk_mul_f32 v[6:7], v[6:7], v[130:131]                    // 000000009B04: D3B14006 18030506
	v_pk_mul_f32 v[4:5], v[4:5], s[60:61]                      // 000000009B0C: D3B14004 18007904
	v_pk_mul_f32 v[6:7], v[6:7], s[60:61]                      // 000000009B14: D3B14006 18007906
	v_exp_f32_e32 v4, v4                                       // 000000009B1C: 7E084104
	v_exp_f32_e32 v5, v5                                       // 000000009B20: 7E0A4105
	v_exp_f32_e32 v6, v6                                       // 000000009B24: 7E0C4106
	v_exp_f32_e32 v7, v7                                       // 000000009B28: 7E0E4107
	v_add_f32_e64 v4, v4, 1.0                                  // 000000009B2C: D1010004 0001E504
	v_add_f32_e64 v5, v5, 1.0                                  // 000000009B34: D1010005 0001E505
	v_add_f32_e64 v6, v6, 1.0                                  // 000000009B3C: D1010006 0001E506
	v_add_f32_e64 v7, v7, 1.0                                  // 000000009B44: D1010007 0001E507
	v_rcp_f32_e32 v4, v4                                       // 000000009B4C: 7E084504
	v_rcp_f32_e32 v5, v5                                       // 000000009B50: 7E0A4505
	v_rcp_f32_e32 v6, v6                                       // 000000009B54: 7E0C4506
	v_rcp_f32_e32 v7, v7                                       // 000000009B58: 7E0E4507
	v_mul_f32_e32 v128, v128, v4                               // 000000009B5C: 0B000980
	v_mul_f32_e32 v129, v129, v5                               // 000000009B60: 0B020B81
	v_mul_f32_e32 v130, v130, v6                               // 000000009B64: 0B040D82
	v_mul_f32_e32 v131, v131, v7                               // 000000009B68: 0B060F83
	v_mul_f32_e32 v128, v128, v168                             // 000000009B6C: 0B015180
	v_mul_f32_e32 v129, v129, v169                             // 000000009B70: 0B035381
	v_mul_f32_e32 v130, v130, v170                             // 000000009B74: 0B055582
	v_mul_f32_e32 v131, v131, v171                             // 000000009B78: 0B075783
	s_branch label_1DA3                                        // 000000009B7C: BF820140

0000000000009b80 <label_1C63>:
	v_mul_f32_e64 v4, -v92, s6                                 // 000000009B80: D1050004 20000D5C
	v_mul_f32_e64 v5, -v93, s6                                 // 000000009B88: D1050005 20000D5D
	v_mul_f32_e64 v6, -v94, s6                                 // 000000009B90: D1050006 20000D5E
	v_mul_f32_e64 v7, -v95, s6                                 // 000000009B98: D1050007 20000D5F
	v_exp_f32_e32 v4, v4                                       // 000000009BA0: 7E084104
	v_exp_f32_e32 v5, v5                                       // 000000009BA4: 7E0A4105
	v_exp_f32_e32 v6, v6                                       // 000000009BA8: 7E0C4106
	v_exp_f32_e32 v7, v7                                       // 000000009BAC: 7E0E4107
	v_add_f32_e64 v4, v4, 1.0                                  // 000000009BB0: D1010004 0001E504
	v_add_f32_e64 v5, v5, 1.0                                  // 000000009BB8: D1010005 0001E505
	v_add_f32_e64 v6, v6, 1.0                                  // 000000009BC0: D1010006 0001E506
	v_add_f32_e64 v7, v7, 1.0                                  // 000000009BC8: D1010007 0001E507
	v_rcp_f32_e32 v4, v4                                       // 000000009BD0: 7E084504
	v_rcp_f32_e32 v5, v5                                       // 000000009BD4: 7E0A4505
	v_rcp_f32_e32 v6, v6                                       // 000000009BD8: 7E0C4506
	v_rcp_f32_e32 v7, v7                                       // 000000009BDC: 7E0E4507
	v_mul_f32_e32 v92, v92, v4                                 // 000000009BE0: 0AB8095C
	v_mul_f32_e32 v93, v93, v5                                 // 000000009BE4: 0ABA0B5D
	v_mul_f32_e32 v94, v94, v6                                 // 000000009BE8: 0ABC0D5E
	v_mul_f32_e32 v95, v95, v7                                 // 000000009BEC: 0ABE0F5F
	v_mul_f32_e32 v92, v92, v132                               // 000000009BF0: 0AB9095C
	v_mul_f32_e32 v93, v93, v133                               // 000000009BF4: 0ABB0B5D
	v_mul_f32_e32 v94, v94, v134                               // 000000009BF8: 0ABD0D5E
	v_mul_f32_e32 v95, v95, v135                               // 000000009BFC: 0ABF0F5F
	v_mul_f32_e64 v4, -v96, s6                                 // 000000009C00: D1050004 20000D60
	v_mul_f32_e64 v5, -v97, s6                                 // 000000009C08: D1050005 20000D61
	v_mul_f32_e64 v6, -v98, s6                                 // 000000009C10: D1050006 20000D62
	v_mul_f32_e64 v7, -v99, s6                                 // 000000009C18: D1050007 20000D63
	v_exp_f32_e32 v4, v4                                       // 000000009C20: 7E084104
	v_exp_f32_e32 v5, v5                                       // 000000009C24: 7E0A4105
	v_exp_f32_e32 v6, v6                                       // 000000009C28: 7E0C4106
	v_exp_f32_e32 v7, v7                                       // 000000009C2C: 7E0E4107
	v_add_f32_e64 v4, v4, 1.0                                  // 000000009C30: D1010004 0001E504
	v_add_f32_e64 v5, v5, 1.0                                  // 000000009C38: D1010005 0001E505
	v_add_f32_e64 v6, v6, 1.0                                  // 000000009C40: D1010006 0001E506
	v_add_f32_e64 v7, v7, 1.0                                  // 000000009C48: D1010007 0001E507
	v_rcp_f32_e32 v4, v4                                       // 000000009C50: 7E084504
	v_rcp_f32_e32 v5, v5                                       // 000000009C54: 7E0A4505
	v_rcp_f32_e32 v6, v6                                       // 000000009C58: 7E0C4506
	v_rcp_f32_e32 v7, v7                                       // 000000009C5C: 7E0E4507
	v_mul_f32_e32 v96, v96, v4                                 // 000000009C60: 0AC00960
	v_mul_f32_e32 v97, v97, v5                                 // 000000009C64: 0AC20B61
	v_mul_f32_e32 v98, v98, v6                                 // 000000009C68: 0AC40D62
	v_mul_f32_e32 v99, v99, v7                                 // 000000009C6C: 0AC60F63
	v_mul_f32_e32 v96, v96, v136                               // 000000009C70: 0AC11160
	v_mul_f32_e32 v97, v97, v137                               // 000000009C74: 0AC31361
	v_mul_f32_e32 v98, v98, v138                               // 000000009C78: 0AC51562
	v_mul_f32_e32 v99, v99, v139                               // 000000009C7C: 0AC71763
	v_mul_f32_e64 v4, -v100, s6                                // 000000009C80: D1050004 20000D64
	v_mul_f32_e64 v5, -v101, s6                                // 000000009C88: D1050005 20000D65
	v_mul_f32_e64 v6, -v102, s6                                // 000000009C90: D1050006 20000D66
	v_mul_f32_e64 v7, -v103, s6                                // 000000009C98: D1050007 20000D67
	v_exp_f32_e32 v4, v4                                       // 000000009CA0: 7E084104
	v_exp_f32_e32 v5, v5                                       // 000000009CA4: 7E0A4105
	v_exp_f32_e32 v6, v6                                       // 000000009CA8: 7E0C4106
	v_exp_f32_e32 v7, v7                                       // 000000009CAC: 7E0E4107
	v_add_f32_e64 v4, v4, 1.0                                  // 000000009CB0: D1010004 0001E504
	v_add_f32_e64 v5, v5, 1.0                                  // 000000009CB8: D1010005 0001E505
	v_add_f32_e64 v6, v6, 1.0                                  // 000000009CC0: D1010006 0001E506
	v_add_f32_e64 v7, v7, 1.0                                  // 000000009CC8: D1010007 0001E507
	v_rcp_f32_e32 v4, v4                                       // 000000009CD0: 7E084504
	v_rcp_f32_e32 v5, v5                                       // 000000009CD4: 7E0A4505
	v_rcp_f32_e32 v6, v6                                       // 000000009CD8: 7E0C4506
	v_rcp_f32_e32 v7, v7                                       // 000000009CDC: 7E0E4507
	v_mul_f32_e32 v100, v100, v4                               // 000000009CE0: 0AC80964
	v_mul_f32_e32 v101, v101, v5                               // 000000009CE4: 0ACA0B65
	v_mul_f32_e32 v102, v102, v6                               // 000000009CE8: 0ACC0D66
	v_mul_f32_e32 v103, v103, v7                               // 000000009CEC: 0ACE0F67
	v_mul_f32_e32 v100, v100, v140                             // 000000009CF0: 0AC91964
	v_mul_f32_e32 v101, v101, v141                             // 000000009CF4: 0ACB1B65
	v_mul_f32_e32 v102, v102, v142                             // 000000009CF8: 0ACD1D66
	v_mul_f32_e32 v103, v103, v143                             // 000000009CFC: 0ACF1F67
	v_mul_f32_e64 v4, -v104, s6                                // 000000009D00: D1050004 20000D68
	v_mul_f32_e64 v5, -v105, s6                                // 000000009D08: D1050005 20000D69
	v_mul_f32_e64 v6, -v106, s6                                // 000000009D10: D1050006 20000D6A
	v_mul_f32_e64 v7, -v107, s6                                // 000000009D18: D1050007 20000D6B
	v_exp_f32_e32 v4, v4                                       // 000000009D20: 7E084104
	v_exp_f32_e32 v5, v5                                       // 000000009D24: 7E0A4105
	v_exp_f32_e32 v6, v6                                       // 000000009D28: 7E0C4106
	v_exp_f32_e32 v7, v7                                       // 000000009D2C: 7E0E4107
	v_add_f32_e64 v4, v4, 1.0                                  // 000000009D30: D1010004 0001E504
	v_add_f32_e64 v5, v5, 1.0                                  // 000000009D38: D1010005 0001E505
	v_add_f32_e64 v6, v6, 1.0                                  // 000000009D40: D1010006 0001E506
	v_add_f32_e64 v7, v7, 1.0                                  // 000000009D48: D1010007 0001E507
	v_rcp_f32_e32 v4, v4                                       // 000000009D50: 7E084504
	v_rcp_f32_e32 v5, v5                                       // 000000009D54: 7E0A4505
	v_rcp_f32_e32 v6, v6                                       // 000000009D58: 7E0C4506
	v_rcp_f32_e32 v7, v7                                       // 000000009D5C: 7E0E4507
	v_mul_f32_e32 v104, v104, v4                               // 000000009D60: 0AD00968
	v_mul_f32_e32 v105, v105, v5                               // 000000009D64: 0AD20B69
	v_mul_f32_e32 v106, v106, v6                               // 000000009D68: 0AD40D6A
	v_mul_f32_e32 v107, v107, v7                               // 000000009D6C: 0AD60F6B
	v_mul_f32_e32 v104, v104, v144                             // 000000009D70: 0AD12168
	v_mul_f32_e32 v105, v105, v145                             // 000000009D74: 0AD32369
	v_mul_f32_e32 v106, v106, v146                             // 000000009D78: 0AD5256A
	v_mul_f32_e32 v107, v107, v147                             // 000000009D7C: 0AD7276B
	v_mul_f32_e64 v4, -v108, s6                                // 000000009D80: D1050004 20000D6C
	v_mul_f32_e64 v5, -v109, s6                                // 000000009D88: D1050005 20000D6D
	v_mul_f32_e64 v6, -v110, s6                                // 000000009D90: D1050006 20000D6E
	v_mul_f32_e64 v7, -v111, s6                                // 000000009D98: D1050007 20000D6F
	v_exp_f32_e32 v4, v4                                       // 000000009DA0: 7E084104
	v_exp_f32_e32 v5, v5                                       // 000000009DA4: 7E0A4105
	v_exp_f32_e32 v6, v6                                       // 000000009DA8: 7E0C4106
	v_exp_f32_e32 v7, v7                                       // 000000009DAC: 7E0E4107
	v_add_f32_e64 v4, v4, 1.0                                  // 000000009DB0: D1010004 0001E504
	v_add_f32_e64 v5, v5, 1.0                                  // 000000009DB8: D1010005 0001E505
	v_add_f32_e64 v6, v6, 1.0                                  // 000000009DC0: D1010006 0001E506
	v_add_f32_e64 v7, v7, 1.0                                  // 000000009DC8: D1010007 0001E507
	v_rcp_f32_e32 v4, v4                                       // 000000009DD0: 7E084504
	v_rcp_f32_e32 v5, v5                                       // 000000009DD4: 7E0A4505
	v_rcp_f32_e32 v6, v6                                       // 000000009DD8: 7E0C4506
	v_rcp_f32_e32 v7, v7                                       // 000000009DDC: 7E0E4507
	v_mul_f32_e32 v108, v108, v4                               // 000000009DE0: 0AD8096C
	v_mul_f32_e32 v109, v109, v5                               // 000000009DE4: 0ADA0B6D
	v_mul_f32_e32 v110, v110, v6                               // 000000009DE8: 0ADC0D6E
	v_mul_f32_e32 v111, v111, v7                               // 000000009DEC: 0ADE0F6F
	v_mul_f32_e32 v108, v108, v148                             // 000000009DF0: 0AD9296C
	v_mul_f32_e32 v109, v109, v149                             // 000000009DF4: 0ADB2B6D
	v_mul_f32_e32 v110, v110, v150                             // 000000009DF8: 0ADD2D6E
	v_mul_f32_e32 v111, v111, v151                             // 000000009DFC: 0ADF2F6F
	v_mul_f32_e64 v4, -v112, s6                                // 000000009E00: D1050004 20000D70
	v_mul_f32_e64 v5, -v113, s6                                // 000000009E08: D1050005 20000D71
	v_mul_f32_e64 v6, -v114, s6                                // 000000009E10: D1050006 20000D72
	v_mul_f32_e64 v7, -v115, s6                                // 000000009E18: D1050007 20000D73
	v_exp_f32_e32 v4, v4                                       // 000000009E20: 7E084104
	v_exp_f32_e32 v5, v5                                       // 000000009E24: 7E0A4105
	v_exp_f32_e32 v6, v6                                       // 000000009E28: 7E0C4106
	v_exp_f32_e32 v7, v7                                       // 000000009E2C: 7E0E4107
	v_add_f32_e64 v4, v4, 1.0                                  // 000000009E30: D1010004 0001E504
	v_add_f32_e64 v5, v5, 1.0                                  // 000000009E38: D1010005 0001E505
	v_add_f32_e64 v6, v6, 1.0                                  // 000000009E40: D1010006 0001E506
	v_add_f32_e64 v7, v7, 1.0                                  // 000000009E48: D1010007 0001E507
	v_rcp_f32_e32 v4, v4                                       // 000000009E50: 7E084504
	v_rcp_f32_e32 v5, v5                                       // 000000009E54: 7E0A4505
	v_rcp_f32_e32 v6, v6                                       // 000000009E58: 7E0C4506
	v_rcp_f32_e32 v7, v7                                       // 000000009E5C: 7E0E4507
	v_mul_f32_e32 v112, v112, v4                               // 000000009E60: 0AE00970
	v_mul_f32_e32 v113, v113, v5                               // 000000009E64: 0AE20B71
	v_mul_f32_e32 v114, v114, v6                               // 000000009E68: 0AE40D72
	v_mul_f32_e32 v115, v115, v7                               // 000000009E6C: 0AE60F73
	v_mul_f32_e32 v112, v112, v152                             // 000000009E70: 0AE13170
	v_mul_f32_e32 v113, v113, v153                             // 000000009E74: 0AE33371
	v_mul_f32_e32 v114, v114, v154                             // 000000009E78: 0AE53572
	v_mul_f32_e32 v115, v115, v155                             // 000000009E7C: 0AE73773
	v_mul_f32_e64 v4, -v116, s6                                // 000000009E80: D1050004 20000D74
	v_mul_f32_e64 v5, -v117, s6                                // 000000009E88: D1050005 20000D75
	v_mul_f32_e64 v6, -v118, s6                                // 000000009E90: D1050006 20000D76
	v_mul_f32_e64 v7, -v119, s6                                // 000000009E98: D1050007 20000D77
	v_exp_f32_e32 v4, v4                                       // 000000009EA0: 7E084104
	v_exp_f32_e32 v5, v5                                       // 000000009EA4: 7E0A4105
	v_exp_f32_e32 v6, v6                                       // 000000009EA8: 7E0C4106
	v_exp_f32_e32 v7, v7                                       // 000000009EAC: 7E0E4107
	v_add_f32_e64 v4, v4, 1.0                                  // 000000009EB0: D1010004 0001E504
	v_add_f32_e64 v5, v5, 1.0                                  // 000000009EB8: D1010005 0001E505
	v_add_f32_e64 v6, v6, 1.0                                  // 000000009EC0: D1010006 0001E506
	v_add_f32_e64 v7, v7, 1.0                                  // 000000009EC8: D1010007 0001E507
	v_rcp_f32_e32 v4, v4                                       // 000000009ED0: 7E084504
	v_rcp_f32_e32 v5, v5                                       // 000000009ED4: 7E0A4505
	v_rcp_f32_e32 v6, v6                                       // 000000009ED8: 7E0C4506
	v_rcp_f32_e32 v7, v7                                       // 000000009EDC: 7E0E4507
	v_mul_f32_e32 v116, v116, v4                               // 000000009EE0: 0AE80974
	v_mul_f32_e32 v117, v117, v5                               // 000000009EE4: 0AEA0B75
	v_mul_f32_e32 v118, v118, v6                               // 000000009EE8: 0AEC0D76
	v_mul_f32_e32 v119, v119, v7                               // 000000009EEC: 0AEE0F77
	v_mul_f32_e32 v116, v116, v156                             // 000000009EF0: 0AE93974
	v_mul_f32_e32 v117, v117, v157                             // 000000009EF4: 0AEB3B75
	v_mul_f32_e32 v118, v118, v158                             // 000000009EF8: 0AED3D76
	v_mul_f32_e32 v119, v119, v159                             // 000000009EFC: 0AEF3F77
	v_mul_f32_e64 v4, -v120, s6                                // 000000009F00: D1050004 20000D78
	v_mul_f32_e64 v5, -v121, s6                                // 000000009F08: D1050005 20000D79
	v_mul_f32_e64 v6, -v122, s6                                // 000000009F10: D1050006 20000D7A
	v_mul_f32_e64 v7, -v123, s6                                // 000000009F18: D1050007 20000D7B
	v_exp_f32_e32 v4, v4                                       // 000000009F20: 7E084104
	v_exp_f32_e32 v5, v5                                       // 000000009F24: 7E0A4105
	v_exp_f32_e32 v6, v6                                       // 000000009F28: 7E0C4106
	v_exp_f32_e32 v7, v7                                       // 000000009F2C: 7E0E4107
	v_add_f32_e64 v4, v4, 1.0                                  // 000000009F30: D1010004 0001E504
	v_add_f32_e64 v5, v5, 1.0                                  // 000000009F38: D1010005 0001E505
	v_add_f32_e64 v6, v6, 1.0                                  // 000000009F40: D1010006 0001E506
	v_add_f32_e64 v7, v7, 1.0                                  // 000000009F48: D1010007 0001E507
	v_rcp_f32_e32 v4, v4                                       // 000000009F50: 7E084504
	v_rcp_f32_e32 v5, v5                                       // 000000009F54: 7E0A4505
	v_rcp_f32_e32 v6, v6                                       // 000000009F58: 7E0C4506
	v_rcp_f32_e32 v7, v7                                       // 000000009F5C: 7E0E4507
	v_mul_f32_e32 v120, v120, v4                               // 000000009F60: 0AF00978
	v_mul_f32_e32 v121, v121, v5                               // 000000009F64: 0AF20B79
	v_mul_f32_e32 v122, v122, v6                               // 000000009F68: 0AF40D7A
	v_mul_f32_e32 v123, v123, v7                               // 000000009F6C: 0AF60F7B
	v_mul_f32_e32 v120, v120, v160                             // 000000009F70: 0AF14178
	v_mul_f32_e32 v121, v121, v161                             // 000000009F74: 0AF34379
	v_mul_f32_e32 v122, v122, v162                             // 000000009F78: 0AF5457A
	v_mul_f32_e32 v123, v123, v163                             // 000000009F7C: 0AF7477B
	v_mul_f32_e64 v4, -v124, s6                                // 000000009F80: D1050004 20000D7C
	v_mul_f32_e64 v5, -v125, s6                                // 000000009F88: D1050005 20000D7D
	v_mul_f32_e64 v6, -v126, s6                                // 000000009F90: D1050006 20000D7E
	v_mul_f32_e64 v7, -v127, s6                                // 000000009F98: D1050007 20000D7F
	v_exp_f32_e32 v4, v4                                       // 000000009FA0: 7E084104
	v_exp_f32_e32 v5, v5                                       // 000000009FA4: 7E0A4105
	v_exp_f32_e32 v6, v6                                       // 000000009FA8: 7E0C4106
	v_exp_f32_e32 v7, v7                                       // 000000009FAC: 7E0E4107
	v_add_f32_e64 v4, v4, 1.0                                  // 000000009FB0: D1010004 0001E504
	v_add_f32_e64 v5, v5, 1.0                                  // 000000009FB8: D1010005 0001E505
	v_add_f32_e64 v6, v6, 1.0                                  // 000000009FC0: D1010006 0001E506
	v_add_f32_e64 v7, v7, 1.0                                  // 000000009FC8: D1010007 0001E507
	v_rcp_f32_e32 v4, v4                                       // 000000009FD0: 7E084504
	v_rcp_f32_e32 v5, v5                                       // 000000009FD4: 7E0A4505
	v_rcp_f32_e32 v6, v6                                       // 000000009FD8: 7E0C4506
	v_rcp_f32_e32 v7, v7                                       // 000000009FDC: 7E0E4507
	v_mul_f32_e32 v124, v124, v4                               // 000000009FE0: 0AF8097C
	v_mul_f32_e32 v125, v125, v5                               // 000000009FE4: 0AFA0B7D
	v_mul_f32_e32 v126, v126, v6                               // 000000009FE8: 0AFC0D7E
	v_mul_f32_e32 v127, v127, v7                               // 000000009FEC: 0AFE0F7F
	v_mul_f32_e32 v124, v124, v164                             // 000000009FF0: 0AF9497C
	v_mul_f32_e32 v125, v125, v165                             // 000000009FF4: 0AFB4B7D
	v_mul_f32_e32 v126, v126, v166                             // 000000009FF8: 0AFD4D7E
	v_mul_f32_e32 v127, v127, v167                             // 000000009FFC: 0AFF4F7F
	v_mul_f32_e64 v4, -v128, s6                                // 00000000A000: D1050004 20000D80
	v_mul_f32_e64 v5, -v129, s6                                // 00000000A008: D1050005 20000D81
	v_mul_f32_e64 v6, -v130, s6                                // 00000000A010: D1050006 20000D82
	v_mul_f32_e64 v7, -v131, s6                                // 00000000A018: D1050007 20000D83
	v_exp_f32_e32 v4, v4                                       // 00000000A020: 7E084104
	v_exp_f32_e32 v5, v5                                       // 00000000A024: 7E0A4105
	v_exp_f32_e32 v6, v6                                       // 00000000A028: 7E0C4106
	v_exp_f32_e32 v7, v7                                       // 00000000A02C: 7E0E4107
	v_add_f32_e64 v4, v4, 1.0                                  // 00000000A030: D1010004 0001E504
	v_add_f32_e64 v5, v5, 1.0                                  // 00000000A038: D1010005 0001E505
	v_add_f32_e64 v6, v6, 1.0                                  // 00000000A040: D1010006 0001E506
	v_add_f32_e64 v7, v7, 1.0                                  // 00000000A048: D1010007 0001E507
	v_rcp_f32_e32 v4, v4                                       // 00000000A050: 7E084504
	v_rcp_f32_e32 v5, v5                                       // 00000000A054: 7E0A4505
	v_rcp_f32_e32 v6, v6                                       // 00000000A058: 7E0C4506
	v_rcp_f32_e32 v7, v7                                       // 00000000A05C: 7E0E4507
	v_mul_f32_e32 v128, v128, v4                               // 00000000A060: 0B000980
	v_mul_f32_e32 v129, v129, v5                               // 00000000A064: 0B020B81
	v_mul_f32_e32 v130, v130, v6                               // 00000000A068: 0B040D82
	v_mul_f32_e32 v131, v131, v7                               // 00000000A06C: 0B060F83
	v_mul_f32_e32 v128, v128, v168                             // 00000000A070: 0B015180
	v_mul_f32_e32 v129, v129, v169                             // 00000000A074: 0B035381
	v_mul_f32_e32 v130, v130, v170                             // 00000000A078: 0B055582
	v_mul_f32_e32 v131, v131, v171                             // 00000000A07C: 0B075783

000000000000a080 <label_1DA3>:
	v_cmp_u_f32_e64 s[46:47], v92, v92                         // 00000000A080: D048002E 0002B95C
	v_add3_u32 v16, v92, v19, 1                                // 00000000A088: D1FF0010 0206275C
	v_cndmask_b32_e64 v4, v16, v18, s[46:47]                   // 00000000A090: D1000004 00BA2510
	v_cmp_u_f32_e64 s[46:47], v93, v93                         // 00000000A098: D048002E 0002BB5D
	v_add3_u32 v16, v93, v19, 1                                // 00000000A0A0: D1FF0010 0206275D
	v_cndmask_b32_e64 v5, v16, v18, s[46:47]                   // 00000000A0A8: D1000005 00BA2510
	v_perm_b32 v92, v5, v4, s52                                // 00000000A0B0: D1ED005C 00D20905
	v_cmp_u_f32_e64 s[46:47], v94, v94                         // 00000000A0B8: D048002E 0002BD5E
	v_add3_u32 v16, v94, v19, 1                                // 00000000A0C0: D1FF0010 0206275E
	v_cndmask_b32_e64 v4, v16, v18, s[46:47]                   // 00000000A0C8: D1000004 00BA2510
	v_cmp_u_f32_e64 s[46:47], v95, v95                         // 00000000A0D0: D048002E 0002BF5F
	v_add3_u32 v16, v95, v19, 1                                // 00000000A0D8: D1FF0010 0206275F
	v_cndmask_b32_e64 v5, v16, v18, s[46:47]                   // 00000000A0E0: D1000005 00BA2510
	v_perm_b32 v93, v5, v4, s52                                // 00000000A0E8: D1ED005D 00D20905
	v_cmp_u_f32_e64 s[46:47], v96, v96                         // 00000000A0F0: D048002E 0002C160
	v_add3_u32 v16, v96, v19, 1                                // 00000000A0F8: D1FF0010 02062760
	v_cndmask_b32_e64 v4, v16, v18, s[46:47]                   // 00000000A100: D1000004 00BA2510
	v_cmp_u_f32_e64 s[46:47], v97, v97                         // 00000000A108: D048002E 0002C361
	v_add3_u32 v16, v97, v19, 1                                // 00000000A110: D1FF0010 02062761
	v_cndmask_b32_e64 v5, v16, v18, s[46:47]                   // 00000000A118: D1000005 00BA2510
	v_perm_b32 v94, v5, v4, s52                                // 00000000A120: D1ED005E 00D20905
	v_cmp_u_f32_e64 s[46:47], v98, v98                         // 00000000A128: D048002E 0002C562
	v_add3_u32 v16, v98, v19, 1                                // 00000000A130: D1FF0010 02062762
	v_cndmask_b32_e64 v4, v16, v18, s[46:47]                   // 00000000A138: D1000004 00BA2510
	v_cmp_u_f32_e64 s[46:47], v99, v99                         // 00000000A140: D048002E 0002C763
	v_add3_u32 v16, v99, v19, 1                                // 00000000A148: D1FF0010 02062763
	v_cndmask_b32_e64 v5, v16, v18, s[46:47]                   // 00000000A150: D1000005 00BA2510
	v_perm_b32 v95, v5, v4, s52                                // 00000000A158: D1ED005F 00D20905
	v_cmp_u_f32_e64 s[46:47], v100, v100                       // 00000000A160: D048002E 0002C964
	v_add3_u32 v16, v100, v19, 1                               // 00000000A168: D1FF0010 02062764
	v_cndmask_b32_e64 v4, v16, v18, s[46:47]                   // 00000000A170: D1000004 00BA2510
	v_cmp_u_f32_e64 s[46:47], v101, v101                       // 00000000A178: D048002E 0002CB65
	v_add3_u32 v16, v101, v19, 1                               // 00000000A180: D1FF0010 02062765
	v_cndmask_b32_e64 v5, v16, v18, s[46:47]                   // 00000000A188: D1000005 00BA2510
	v_perm_b32 v96, v5, v4, s52                                // 00000000A190: D1ED0060 00D20905
	v_cmp_u_f32_e64 s[46:47], v102, v102                       // 00000000A198: D048002E 0002CD66
	v_add3_u32 v16, v102, v19, 1                               // 00000000A1A0: D1FF0010 02062766
	v_cndmask_b32_e64 v4, v16, v18, s[46:47]                   // 00000000A1A8: D1000004 00BA2510
	v_cmp_u_f32_e64 s[46:47], v103, v103                       // 00000000A1B0: D048002E 0002CF67
	v_add3_u32 v16, v103, v19, 1                               // 00000000A1B8: D1FF0010 02062767
	v_cndmask_b32_e64 v5, v16, v18, s[46:47]                   // 00000000A1C0: D1000005 00BA2510
	v_perm_b32 v97, v5, v4, s52                                // 00000000A1C8: D1ED0061 00D20905
	v_cmp_u_f32_e64 s[46:47], v104, v104                       // 00000000A1D0: D048002E 0002D168
	v_add3_u32 v16, v104, v19, 1                               // 00000000A1D8: D1FF0010 02062768
	v_cndmask_b32_e64 v4, v16, v18, s[46:47]                   // 00000000A1E0: D1000004 00BA2510
	v_cmp_u_f32_e64 s[46:47], v105, v105                       // 00000000A1E8: D048002E 0002D369
	v_add3_u32 v16, v105, v19, 1                               // 00000000A1F0: D1FF0010 02062769
	v_cndmask_b32_e64 v5, v16, v18, s[46:47]                   // 00000000A1F8: D1000005 00BA2510
	v_perm_b32 v98, v5, v4, s52                                // 00000000A200: D1ED0062 00D20905
	v_cmp_u_f32_e64 s[46:47], v106, v106                       // 00000000A208: D048002E 0002D56A
	v_add3_u32 v16, v106, v19, 1                               // 00000000A210: D1FF0010 0206276A
	v_cndmask_b32_e64 v4, v16, v18, s[46:47]                   // 00000000A218: D1000004 00BA2510
	v_cmp_u_f32_e64 s[46:47], v107, v107                       // 00000000A220: D048002E 0002D76B
	v_add3_u32 v16, v107, v19, 1                               // 00000000A228: D1FF0010 0206276B
	v_cndmask_b32_e64 v5, v16, v18, s[46:47]                   // 00000000A230: D1000005 00BA2510
	v_perm_b32 v99, v5, v4, s52                                // 00000000A238: D1ED0063 00D20905
	v_cmp_u_f32_e64 s[46:47], v108, v108                       // 00000000A240: D048002E 0002D96C
	v_add3_u32 v16, v108, v19, 1                               // 00000000A248: D1FF0010 0206276C
	v_cndmask_b32_e64 v4, v16, v18, s[46:47]                   // 00000000A250: D1000004 00BA2510
	v_cmp_u_f32_e64 s[46:47], v109, v109                       // 00000000A258: D048002E 0002DB6D
	v_add3_u32 v16, v109, v19, 1                               // 00000000A260: D1FF0010 0206276D
	v_cndmask_b32_e64 v5, v16, v18, s[46:47]                   // 00000000A268: D1000005 00BA2510
	v_perm_b32 v100, v5, v4, s52                               // 00000000A270: D1ED0064 00D20905
	v_cmp_u_f32_e64 s[46:47], v110, v110                       // 00000000A278: D048002E 0002DD6E
	v_add3_u32 v16, v110, v19, 1                               // 00000000A280: D1FF0010 0206276E
	v_cndmask_b32_e64 v4, v16, v18, s[46:47]                   // 00000000A288: D1000004 00BA2510
	v_cmp_u_f32_e64 s[46:47], v111, v111                       // 00000000A290: D048002E 0002DF6F
	v_add3_u32 v16, v111, v19, 1                               // 00000000A298: D1FF0010 0206276F
	v_cndmask_b32_e64 v5, v16, v18, s[46:47]                   // 00000000A2A0: D1000005 00BA2510
	v_perm_b32 v101, v5, v4, s52                               // 00000000A2A8: D1ED0065 00D20905
	v_cmp_u_f32_e64 s[46:47], v112, v112                       // 00000000A2B0: D048002E 0002E170
	v_add3_u32 v16, v112, v19, 1                               // 00000000A2B8: D1FF0010 02062770
	v_cndmask_b32_e64 v4, v16, v18, s[46:47]                   // 00000000A2C0: D1000004 00BA2510
	v_cmp_u_f32_e64 s[46:47], v113, v113                       // 00000000A2C8: D048002E 0002E371
	v_add3_u32 v16, v113, v19, 1                               // 00000000A2D0: D1FF0010 02062771
	v_cndmask_b32_e64 v5, v16, v18, s[46:47]                   // 00000000A2D8: D1000005 00BA2510
	v_perm_b32 v102, v5, v4, s52                               // 00000000A2E0: D1ED0066 00D20905
	v_cmp_u_f32_e64 s[46:47], v114, v114                       // 00000000A2E8: D048002E 0002E572
	v_add3_u32 v16, v114, v19, 1                               // 00000000A2F0: D1FF0010 02062772
	v_cndmask_b32_e64 v4, v16, v18, s[46:47]                   // 00000000A2F8: D1000004 00BA2510
	v_cmp_u_f32_e64 s[46:47], v115, v115                       // 00000000A300: D048002E 0002E773
	v_add3_u32 v16, v115, v19, 1                               // 00000000A308: D1FF0010 02062773
	v_cndmask_b32_e64 v5, v16, v18, s[46:47]                   // 00000000A310: D1000005 00BA2510
	v_perm_b32 v103, v5, v4, s52                               // 00000000A318: D1ED0067 00D20905
	v_cmp_u_f32_e64 s[46:47], v116, v116                       // 00000000A320: D048002E 0002E974
	v_add3_u32 v16, v116, v19, 1                               // 00000000A328: D1FF0010 02062774
	v_cndmask_b32_e64 v4, v16, v18, s[46:47]                   // 00000000A330: D1000004 00BA2510
	v_cmp_u_f32_e64 s[46:47], v117, v117                       // 00000000A338: D048002E 0002EB75
	v_add3_u32 v16, v117, v19, 1                               // 00000000A340: D1FF0010 02062775
	v_cndmask_b32_e64 v5, v16, v18, s[46:47]                   // 00000000A348: D1000005 00BA2510
	v_perm_b32 v104, v5, v4, s52                               // 00000000A350: D1ED0068 00D20905
	v_cmp_u_f32_e64 s[46:47], v118, v118                       // 00000000A358: D048002E 0002ED76
	v_add3_u32 v16, v118, v19, 1                               // 00000000A360: D1FF0010 02062776
	v_cndmask_b32_e64 v4, v16, v18, s[46:47]                   // 00000000A368: D1000004 00BA2510
	v_cmp_u_f32_e64 s[46:47], v119, v119                       // 00000000A370: D048002E 0002EF77
	v_add3_u32 v16, v119, v19, 1                               // 00000000A378: D1FF0010 02062777
	v_cndmask_b32_e64 v5, v16, v18, s[46:47]                   // 00000000A380: D1000005 00BA2510
	v_perm_b32 v105, v5, v4, s52                               // 00000000A388: D1ED0069 00D20905
	v_cmp_u_f32_e64 s[46:47], v120, v120                       // 00000000A390: D048002E 0002F178
	v_add3_u32 v16, v120, v19, 1                               // 00000000A398: D1FF0010 02062778
	v_cndmask_b32_e64 v4, v16, v18, s[46:47]                   // 00000000A3A0: D1000004 00BA2510
	v_cmp_u_f32_e64 s[46:47], v121, v121                       // 00000000A3A8: D048002E 0002F379
	v_add3_u32 v16, v121, v19, 1                               // 00000000A3B0: D1FF0010 02062779
	v_cndmask_b32_e64 v5, v16, v18, s[46:47]                   // 00000000A3B8: D1000005 00BA2510
	v_perm_b32 v106, v5, v4, s52                               // 00000000A3C0: D1ED006A 00D20905
	v_cmp_u_f32_e64 s[46:47], v122, v122                       // 00000000A3C8: D048002E 0002F57A
	v_add3_u32 v16, v122, v19, 1                               // 00000000A3D0: D1FF0010 0206277A
	v_cndmask_b32_e64 v4, v16, v18, s[46:47]                   // 00000000A3D8: D1000004 00BA2510
	v_cmp_u_f32_e64 s[46:47], v123, v123                       // 00000000A3E0: D048002E 0002F77B
	v_add3_u32 v16, v123, v19, 1                               // 00000000A3E8: D1FF0010 0206277B
	v_cndmask_b32_e64 v5, v16, v18, s[46:47]                   // 00000000A3F0: D1000005 00BA2510
	v_perm_b32 v107, v5, v4, s52                               // 00000000A3F8: D1ED006B 00D20905
	v_cmp_u_f32_e64 s[46:47], v124, v124                       // 00000000A400: D048002E 0002F97C
	v_add3_u32 v16, v124, v19, 1                               // 00000000A408: D1FF0010 0206277C
	v_cndmask_b32_e64 v4, v16, v18, s[46:47]                   // 00000000A410: D1000004 00BA2510
	v_cmp_u_f32_e64 s[46:47], v125, v125                       // 00000000A418: D048002E 0002FB7D
	v_add3_u32 v16, v125, v19, 1                               // 00000000A420: D1FF0010 0206277D
	v_cndmask_b32_e64 v5, v16, v18, s[46:47]                   // 00000000A428: D1000005 00BA2510
	v_perm_b32 v108, v5, v4, s52                               // 00000000A430: D1ED006C 00D20905
	v_cmp_u_f32_e64 s[46:47], v126, v126                       // 00000000A438: D048002E 0002FD7E
	v_add3_u32 v16, v126, v19, 1                               // 00000000A440: D1FF0010 0206277E
	v_cndmask_b32_e64 v4, v16, v18, s[46:47]                   // 00000000A448: D1000004 00BA2510
	v_cmp_u_f32_e64 s[46:47], v127, v127                       // 00000000A450: D048002E 0002FF7F
	v_add3_u32 v16, v127, v19, 1                               // 00000000A458: D1FF0010 0206277F
	v_cndmask_b32_e64 v5, v16, v18, s[46:47]                   // 00000000A460: D1000005 00BA2510
	v_perm_b32 v109, v5, v4, s52                               // 00000000A468: D1ED006D 00D20905
	v_cmp_u_f32_e64 s[46:47], v128, v128                       // 00000000A470: D048002E 00030180
	v_add3_u32 v16, v128, v19, 1                               // 00000000A478: D1FF0010 02062780
	v_cndmask_b32_e64 v4, v16, v18, s[46:47]                   // 00000000A480: D1000004 00BA2510
	v_cmp_u_f32_e64 s[46:47], v129, v129                       // 00000000A488: D048002E 00030381
	v_add3_u32 v16, v129, v19, 1                               // 00000000A490: D1FF0010 02062781
	v_cndmask_b32_e64 v5, v16, v18, s[46:47]                   // 00000000A498: D1000005 00BA2510
	v_perm_b32 v110, v5, v4, s52                               // 00000000A4A0: D1ED006E 00D20905
	v_cmp_u_f32_e64 s[46:47], v130, v130                       // 00000000A4A8: D048002E 00030582
	v_add3_u32 v16, v130, v19, 1                               // 00000000A4B0: D1FF0010 02062782
	v_cndmask_b32_e64 v4, v16, v18, s[46:47]                   // 00000000A4B8: D1000004 00BA2510
	v_cmp_u_f32_e64 s[46:47], v131, v131                       // 00000000A4C0: D048002E 00030783
	v_add3_u32 v16, v131, v19, 1                               // 00000000A4C8: D1FF0010 02062783
	v_cndmask_b32_e64 v5, v16, v18, s[46:47]                   // 00000000A4D0: D1000005 00BA2510
	v_perm_b32 v111, v5, v4, s52                               // 00000000A4D8: D1ED006F 00D20905
	ds_write_b64 v20, v[92:93]                                 // 00000000A4E0: D89A0000 00005C14
	ds_write_b64 v20, v[94:95] offset:2176                     // 00000000A4E8: D89A0880 00005E14
	ds_write_b64 v20, v[96:97] offset:4352                     // 00000000A4F0: D89A1100 00006014
	ds_write_b64 v20, v[98:99] offset:6528                     // 00000000A4F8: D89A1980 00006214
	ds_write_b64 v20, v[100:101] offset:8704                   // 00000000A500: D89A2200 00006414
	ds_write_b64 v20, v[102:103] offset:10880                  // 00000000A508: D89A2A80 00006614
	ds_write_b64 v20, v[104:105] offset:13056                  // 00000000A510: D89A3300 00006814
	ds_write_b64 v20, v[106:107] offset:15232                  // 00000000A518: D89A3B80 00006A14
	ds_write_b64 v20, v[108:109] offset:17408                  // 00000000A520: D89A4400 00006C14
	ds_write_b64 v20, v[110:111] offset:19584                  // 00000000A528: D89A4C80 00006E14
	v_lshrrev_b32_e32 v4, 5, v0                                // 00000000A530: 20080085
	v_xor_b32_e32 v5, 1, v4                                    // 00000000A534: 2A0A0881
	s_mul_i32 s60, s65, 2                                      // 00000000A538: 923C8241
	s_cmp_eq_u32 s88, 0                                        // 00000000A53C: BF068058
	s_cselect_b32 s61, 1, 4                                    // 00000000A540: 853D8481
	s_mul_i32 s60, s61, s60                                    // 00000000A544: 923C3C3D
	v_readlane_b32 s82, v3, 0                                  // 00000000A548: D2890052 00010103
	s_lshr_b32 s61, s82, 24                                    // 00000000A550: 8F3D9852
	s_and_b32 s82, s82, 0xffffff                               // 00000000A554: 8652FF52 00FFFFFF
	s_mul_i32 s82, s82, s71                                    // 00000000A55C: 92524752
	s_mul_i32 s61, s60, s61                                    // 00000000A560: 923D3D3C
	s_add_u32 s82, s82, s61                                    // 00000000A564: 80523D52
	v_mul_lo_u32 v6, v5, s82                                   // 00000000A568: D2850006 0000A505
	v_readlane_b32 s82, v3, 1                                  // 00000000A570: D2890052 00010303
	s_lshr_b32 s61, s82, 24                                    // 00000000A578: 8F3D9852
	s_and_b32 s82, s82, 0xffffff                               // 00000000A57C: 8652FF52 00FFFFFF
	s_mul_i32 s82, s82, s71                                    // 00000000A584: 92524752
	s_mul_i32 s61, s60, s61                                    // 00000000A588: 923D3D3C
	s_add_u32 s82, s82, s61                                    // 00000000A58C: 80523D52
	v_mul_lo_u32 v7, v4, s82                                   // 00000000A590: D2850007 0000A504
	v_add_u32_e32 v68, v6, v7                                  // 00000000A598: 68880F06
	v_readlane_b32 s82, v3, 2                                  // 00000000A59C: D2890052 00010503
	s_lshr_b32 s61, s82, 24                                    // 00000000A5A4: 8F3D9852
	s_and_b32 s82, s82, 0xffffff                               // 00000000A5A8: 8652FF52 00FFFFFF
	s_mul_i32 s82, s82, s71                                    // 00000000A5B0: 92524752
	s_mul_i32 s61, s60, s61                                    // 00000000A5B4: 923D3D3C
	s_add_u32 s82, s82, s61                                    // 00000000A5B8: 80523D52
	v_mul_lo_u32 v6, v5, s82                                   // 00000000A5BC: D2850006 0000A505
	v_readlane_b32 s82, v3, 3                                  // 00000000A5C4: D2890052 00010703
	s_lshr_b32 s61, s82, 24                                    // 00000000A5CC: 8F3D9852
	s_and_b32 s82, s82, 0xffffff                               // 00000000A5D0: 8652FF52 00FFFFFF
	s_mul_i32 s82, s82, s71                                    // 00000000A5D8: 92524752
	s_mul_i32 s61, s60, s61                                    // 00000000A5DC: 923D3D3C
	s_add_u32 s82, s82, s61                                    // 00000000A5E0: 80523D52
	v_mul_lo_u32 v7, v4, s82                                   // 00000000A5E4: D2850007 0000A504
	v_add_u32_e32 v69, v6, v7                                  // 00000000A5EC: 688A0F06
	v_readlane_b32 s82, v3, 4                                  // 00000000A5F0: D2890052 00010903
	s_lshr_b32 s61, s82, 24                                    // 00000000A5F8: 8F3D9852
	s_and_b32 s82, s82, 0xffffff                               // 00000000A5FC: 8652FF52 00FFFFFF
	s_mul_i32 s82, s82, s71                                    // 00000000A604: 92524752
	s_mul_i32 s61, s60, s61                                    // 00000000A608: 923D3D3C
	s_add_u32 s82, s82, s61                                    // 00000000A60C: 80523D52
	v_mul_lo_u32 v6, v5, s82                                   // 00000000A610: D2850006 0000A505
	v_readlane_b32 s82, v3, 5                                  // 00000000A618: D2890052 00010B03
	s_lshr_b32 s61, s82, 24                                    // 00000000A620: 8F3D9852
	s_and_b32 s82, s82, 0xffffff                               // 00000000A624: 8652FF52 00FFFFFF
	s_mul_i32 s82, s82, s71                                    // 00000000A62C: 92524752
	s_mul_i32 s61, s60, s61                                    // 00000000A630: 923D3D3C
	s_add_u32 s82, s82, s61                                    // 00000000A634: 80523D52
	v_mul_lo_u32 v7, v4, s82                                   // 00000000A638: D2850007 0000A504
	v_add_u32_e32 v70, v6, v7                                  // 00000000A640: 688C0F06
	v_readlane_b32 s82, v3, 6                                  // 00000000A644: D2890052 00010D03
	s_lshr_b32 s61, s82, 24                                    // 00000000A64C: 8F3D9852
	s_and_b32 s82, s82, 0xffffff                               // 00000000A650: 8652FF52 00FFFFFF
	s_mul_i32 s82, s82, s71                                    // 00000000A658: 92524752
	s_mul_i32 s61, s60, s61                                    // 00000000A65C: 923D3D3C
	s_add_u32 s82, s82, s61                                    // 00000000A660: 80523D52
	v_mul_lo_u32 v6, v5, s82                                   // 00000000A664: D2850006 0000A505
	v_readlane_b32 s82, v3, 7                                  // 00000000A66C: D2890052 00010F03
	s_lshr_b32 s61, s82, 24                                    // 00000000A674: 8F3D9852
	s_and_b32 s82, s82, 0xffffff                               // 00000000A678: 8652FF52 00FFFFFF
	s_mul_i32 s82, s82, s71                                    // 00000000A680: 92524752
	s_mul_i32 s61, s60, s61                                    // 00000000A684: 923D3D3C
	s_add_u32 s82, s82, s61                                    // 00000000A688: 80523D52
	v_mul_lo_u32 v7, v4, s82                                   // 00000000A68C: D2850007 0000A504
	v_add_u32_e32 v71, v6, v7                                  // 00000000A694: 688E0F06
	v_readlane_b32 s82, v3, 8                                  // 00000000A698: D2890052 00011103
	s_lshr_b32 s61, s82, 24                                    // 00000000A6A0: 8F3D9852
	s_and_b32 s82, s82, 0xffffff                               // 00000000A6A4: 8652FF52 00FFFFFF
	s_mul_i32 s82, s82, s71                                    // 00000000A6AC: 92524752
	s_mul_i32 s61, s60, s61                                    // 00000000A6B0: 923D3D3C
	s_add_u32 s82, s82, s61                                    // 00000000A6B4: 80523D52
	v_mul_lo_u32 v6, v5, s82                                   // 00000000A6B8: D2850006 0000A505
	v_readlane_b32 s82, v3, 9                                  // 00000000A6C0: D2890052 00011303
	s_lshr_b32 s61, s82, 24                                    // 00000000A6C8: 8F3D9852
	s_and_b32 s82, s82, 0xffffff                               // 00000000A6CC: 8652FF52 00FFFFFF
	s_mul_i32 s82, s82, s71                                    // 00000000A6D4: 92524752
	s_mul_i32 s61, s60, s61                                    // 00000000A6D8: 923D3D3C
	s_add_u32 s82, s82, s61                                    // 00000000A6DC: 80523D52
	v_mul_lo_u32 v7, v4, s82                                   // 00000000A6E0: D2850007 0000A504
	v_add_u32_e32 v72, v6, v7                                  // 00000000A6E8: 68900F06
	v_readlane_b32 s82, v3, 10                                 // 00000000A6EC: D2890052 00011503
	s_lshr_b32 s61, s82, 24                                    // 00000000A6F4: 8F3D9852
	s_and_b32 s82, s82, 0xffffff                               // 00000000A6F8: 8652FF52 00FFFFFF
	s_mul_i32 s82, s82, s71                                    // 00000000A700: 92524752
	s_mul_i32 s61, s60, s61                                    // 00000000A704: 923D3D3C
	s_add_u32 s82, s82, s61                                    // 00000000A708: 80523D52
	v_mul_lo_u32 v6, v5, s82                                   // 00000000A70C: D2850006 0000A505
	v_readlane_b32 s82, v3, 11                                 // 00000000A714: D2890052 00011703
	s_lshr_b32 s61, s82, 24                                    // 00000000A71C: 8F3D9852
	s_and_b32 s82, s82, 0xffffff                               // 00000000A720: 8652FF52 00FFFFFF
	s_mul_i32 s82, s82, s71                                    // 00000000A728: 92524752
	s_mul_i32 s61, s60, s61                                    // 00000000A72C: 923D3D3C
	s_add_u32 s82, s82, s61                                    // 00000000A730: 80523D52
	v_mul_lo_u32 v7, v4, s82                                   // 00000000A734: D2850007 0000A504
	v_add_u32_e32 v73, v6, v7                                  // 00000000A73C: 68920F06
	v_readlane_b32 s82, v3, 12                                 // 00000000A740: D2890052 00011903
	s_lshr_b32 s61, s82, 24                                    // 00000000A748: 8F3D9852
	s_and_b32 s82, s82, 0xffffff                               // 00000000A74C: 8652FF52 00FFFFFF
	s_mul_i32 s82, s82, s71                                    // 00000000A754: 92524752
	s_mul_i32 s61, s60, s61                                    // 00000000A758: 923D3D3C
	s_add_u32 s82, s82, s61                                    // 00000000A75C: 80523D52
	v_mul_lo_u32 v6, v5, s82                                   // 00000000A760: D2850006 0000A505
	v_readlane_b32 s82, v3, 13                                 // 00000000A768: D2890052 00011B03
	s_lshr_b32 s61, s82, 24                                    // 00000000A770: 8F3D9852
	s_and_b32 s82, s82, 0xffffff                               // 00000000A774: 8652FF52 00FFFFFF
	s_mul_i32 s82, s82, s71                                    // 00000000A77C: 92524752
	s_mul_i32 s61, s60, s61                                    // 00000000A780: 923D3D3C
	s_add_u32 s82, s82, s61                                    // 00000000A784: 80523D52
	v_mul_lo_u32 v7, v4, s82                                   // 00000000A788: D2850007 0000A504
	v_add_u32_e32 v74, v6, v7                                  // 00000000A790: 68940F06
	v_readlane_b32 s82, v3, 14                                 // 00000000A794: D2890052 00011D03
	s_lshr_b32 s61, s82, 24                                    // 00000000A79C: 8F3D9852
	s_and_b32 s82, s82, 0xffffff                               // 00000000A7A0: 8652FF52 00FFFFFF
	s_mul_i32 s82, s82, s71                                    // 00000000A7A8: 92524752
	s_mul_i32 s61, s60, s61                                    // 00000000A7AC: 923D3D3C
	s_add_u32 s82, s82, s61                                    // 00000000A7B0: 80523D52
	v_mul_lo_u32 v6, v5, s82                                   // 00000000A7B4: D2850006 0000A505
	v_readlane_b32 s82, v3, 15                                 // 00000000A7BC: D2890052 00011F03
	s_lshr_b32 s61, s82, 24                                    // 00000000A7C4: 8F3D9852
	s_and_b32 s82, s82, 0xffffff                               // 00000000A7C8: 8652FF52 00FFFFFF
	s_mul_i32 s82, s82, s71                                    // 00000000A7D0: 92524752
	s_mul_i32 s61, s60, s61                                    // 00000000A7D4: 923D3D3C
	s_add_u32 s82, s82, s61                                    // 00000000A7D8: 80523D52
	v_mul_lo_u32 v7, v4, s82                                   // 00000000A7DC: D2850007 0000A504
	v_add_u32_e32 v75, v6, v7                                  // 00000000A7E4: 68960F06
	v_readlane_b32 s82, v3, 16                                 // 00000000A7E8: D2890052 00012103
	s_lshr_b32 s61, s82, 24                                    // 00000000A7F0: 8F3D9852
	s_and_b32 s82, s82, 0xffffff                               // 00000000A7F4: 8652FF52 00FFFFFF
	s_mul_i32 s82, s82, s71                                    // 00000000A7FC: 92524752
	s_mul_i32 s61, s60, s61                                    // 00000000A800: 923D3D3C
	s_add_u32 s82, s82, s61                                    // 00000000A804: 80523D52
	v_mul_lo_u32 v6, v5, s82                                   // 00000000A808: D2850006 0000A505
	v_readlane_b32 s82, v3, 17                                 // 00000000A810: D2890052 00012303
	s_lshr_b32 s61, s82, 24                                    // 00000000A818: 8F3D9852
	s_and_b32 s82, s82, 0xffffff                               // 00000000A81C: 8652FF52 00FFFFFF
	s_mul_i32 s82, s82, s71                                    // 00000000A824: 92524752
	s_mul_i32 s61, s60, s61                                    // 00000000A828: 923D3D3C
	s_add_u32 s82, s82, s61                                    // 00000000A82C: 80523D52
	v_mul_lo_u32 v7, v4, s82                                   // 00000000A830: D2850007 0000A504
	v_add_u32_e32 v76, v6, v7                                  // 00000000A838: 68980F06
	v_readlane_b32 s82, v3, 18                                 // 00000000A83C: D2890052 00012503
	s_lshr_b32 s61, s82, 24                                    // 00000000A844: 8F3D9852
	s_and_b32 s82, s82, 0xffffff                               // 00000000A848: 8652FF52 00FFFFFF
	s_mul_i32 s82, s82, s71                                    // 00000000A850: 92524752
	s_mul_i32 s61, s60, s61                                    // 00000000A854: 923D3D3C
	s_add_u32 s82, s82, s61                                    // 00000000A858: 80523D52
	v_mul_lo_u32 v6, v5, s82                                   // 00000000A85C: D2850006 0000A505
	v_readlane_b32 s82, v3, 19                                 // 00000000A864: D2890052 00012703
	s_lshr_b32 s61, s82, 24                                    // 00000000A86C: 8F3D9852
	s_and_b32 s82, s82, 0xffffff                               // 00000000A870: 8652FF52 00FFFFFF
	s_mul_i32 s82, s82, s71                                    // 00000000A878: 92524752
	s_mul_i32 s61, s60, s61                                    // 00000000A87C: 923D3D3C
	s_add_u32 s82, s82, s61                                    // 00000000A880: 80523D52
	v_mul_lo_u32 v7, v4, s82                                   // 00000000A884: D2850007 0000A504
	v_add_u32_e32 v77, v6, v7                                  // 00000000A88C: 689A0F06
	v_readlane_b32 s82, v3, 20                                 // 00000000A890: D2890052 00012903
	s_lshr_b32 s61, s82, 24                                    // 00000000A898: 8F3D9852
	s_and_b32 s82, s82, 0xffffff                               // 00000000A89C: 8652FF52 00FFFFFF
	s_mul_i32 s82, s82, s71                                    // 00000000A8A4: 92524752
	s_mul_i32 s61, s60, s61                                    // 00000000A8A8: 923D3D3C
	s_add_u32 s82, s82, s61                                    // 00000000A8AC: 80523D52
	v_mul_lo_u32 v6, v5, s82                                   // 00000000A8B0: D2850006 0000A505
	v_readlane_b32 s82, v3, 21                                 // 00000000A8B8: D2890052 00012B03
	s_lshr_b32 s61, s82, 24                                    // 00000000A8C0: 8F3D9852
	s_and_b32 s82, s82, 0xffffff                               // 00000000A8C4: 8652FF52 00FFFFFF
	s_mul_i32 s82, s82, s71                                    // 00000000A8CC: 92524752
	s_mul_i32 s61, s60, s61                                    // 00000000A8D0: 923D3D3C
	s_add_u32 s82, s82, s61                                    // 00000000A8D4: 80523D52
	v_mul_lo_u32 v7, v4, s82                                   // 00000000A8D8: D2850007 0000A504
	v_add_u32_e32 v78, v6, v7                                  // 00000000A8E0: 689C0F06
	v_readlane_b32 s82, v3, 22                                 // 00000000A8E4: D2890052 00012D03
	s_lshr_b32 s61, s82, 24                                    // 00000000A8EC: 8F3D9852
	s_and_b32 s82, s82, 0xffffff                               // 00000000A8F0: 8652FF52 00FFFFFF
	s_mul_i32 s82, s82, s71                                    // 00000000A8F8: 92524752
	s_mul_i32 s61, s60, s61                                    // 00000000A8FC: 923D3D3C
	s_add_u32 s82, s82, s61                                    // 00000000A900: 80523D52
	v_mul_lo_u32 v6, v5, s82                                   // 00000000A904: D2850006 0000A505
	v_readlane_b32 s82, v3, 23                                 // 00000000A90C: D2890052 00012F03
	s_lshr_b32 s61, s82, 24                                    // 00000000A914: 8F3D9852
	s_and_b32 s82, s82, 0xffffff                               // 00000000A918: 8652FF52 00FFFFFF
	s_mul_i32 s82, s82, s71                                    // 00000000A920: 92524752
	s_mul_i32 s61, s60, s61                                    // 00000000A924: 923D3D3C
	s_add_u32 s82, s82, s61                                    // 00000000A928: 80523D52
	v_mul_lo_u32 v7, v4, s82                                   // 00000000A92C: D2850007 0000A504
	v_add_u32_e32 v79, v6, v7                                  // 00000000A934: 689E0F06
	v_readlane_b32 s82, v3, 24                                 // 00000000A938: D2890052 00013103
	s_lshr_b32 s61, s82, 24                                    // 00000000A940: 8F3D9852
	s_and_b32 s82, s82, 0xffffff                               // 00000000A944: 8652FF52 00FFFFFF
	s_mul_i32 s82, s82, s71                                    // 00000000A94C: 92524752
	s_mul_i32 s61, s60, s61                                    // 00000000A950: 923D3D3C
	s_add_u32 s82, s82, s61                                    // 00000000A954: 80523D52
	v_mul_lo_u32 v6, v5, s82                                   // 00000000A958: D2850006 0000A505
	v_readlane_b32 s82, v3, 25                                 // 00000000A960: D2890052 00013303
	s_lshr_b32 s61, s82, 24                                    // 00000000A968: 8F3D9852
	s_and_b32 s82, s82, 0xffffff                               // 00000000A96C: 8652FF52 00FFFFFF
	s_mul_i32 s82, s82, s71                                    // 00000000A974: 92524752
	s_mul_i32 s61, s60, s61                                    // 00000000A978: 923D3D3C
	s_add_u32 s82, s82, s61                                    // 00000000A97C: 80523D52
	v_mul_lo_u32 v7, v4, s82                                   // 00000000A980: D2850007 0000A504
	v_add_u32_e32 v80, v6, v7                                  // 00000000A988: 68A00F06
	v_readlane_b32 s82, v3, 26                                 // 00000000A98C: D2890052 00013503
	s_lshr_b32 s61, s82, 24                                    // 00000000A994: 8F3D9852
	s_and_b32 s82, s82, 0xffffff                               // 00000000A998: 8652FF52 00FFFFFF
	s_mul_i32 s82, s82, s71                                    // 00000000A9A0: 92524752
	s_mul_i32 s61, s60, s61                                    // 00000000A9A4: 923D3D3C
	s_add_u32 s82, s82, s61                                    // 00000000A9A8: 80523D52
	v_mul_lo_u32 v6, v5, s82                                   // 00000000A9AC: D2850006 0000A505
	v_readlane_b32 s82, v3, 27                                 // 00000000A9B4: D2890052 00013703
	s_lshr_b32 s61, s82, 24                                    // 00000000A9BC: 8F3D9852
	s_and_b32 s82, s82, 0xffffff                               // 00000000A9C0: 8652FF52 00FFFFFF
	s_mul_i32 s82, s82, s71                                    // 00000000A9C8: 92524752
	s_mul_i32 s61, s60, s61                                    // 00000000A9CC: 923D3D3C
	s_add_u32 s82, s82, s61                                    // 00000000A9D0: 80523D52
	v_mul_lo_u32 v7, v4, s82                                   // 00000000A9D4: D2850007 0000A504
	v_add_u32_e32 v81, v6, v7                                  // 00000000A9DC: 68A20F06
	v_readlane_b32 s82, v3, 28                                 // 00000000A9E0: D2890052 00013903
	s_lshr_b32 s61, s82, 24                                    // 00000000A9E8: 8F3D9852
	s_and_b32 s82, s82, 0xffffff                               // 00000000A9EC: 8652FF52 00FFFFFF
	s_mul_i32 s82, s82, s71                                    // 00000000A9F4: 92524752
	s_mul_i32 s61, s60, s61                                    // 00000000A9F8: 923D3D3C
	s_add_u32 s82, s82, s61                                    // 00000000A9FC: 80523D52
	v_mul_lo_u32 v6, v5, s82                                   // 00000000AA00: D2850006 0000A505
	v_readlane_b32 s82, v3, 29                                 // 00000000AA08: D2890052 00013B03
	s_lshr_b32 s61, s82, 24                                    // 00000000AA10: 8F3D9852
	s_and_b32 s82, s82, 0xffffff                               // 00000000AA14: 8652FF52 00FFFFFF
	s_mul_i32 s82, s82, s71                                    // 00000000AA1C: 92524752
	s_mul_i32 s61, s60, s61                                    // 00000000AA20: 923D3D3C
	s_add_u32 s82, s82, s61                                    // 00000000AA24: 80523D52
	v_mul_lo_u32 v7, v4, s82                                   // 00000000AA28: D2850007 0000A504
	v_add_u32_e32 v82, v6, v7                                  // 00000000AA30: 68A40F06
	v_readlane_b32 s82, v3, 30                                 // 00000000AA34: D2890052 00013D03
	s_lshr_b32 s61, s82, 24                                    // 00000000AA3C: 8F3D9852
	s_and_b32 s82, s82, 0xffffff                               // 00000000AA40: 8652FF52 00FFFFFF
	s_mul_i32 s82, s82, s71                                    // 00000000AA48: 92524752
	s_mul_i32 s61, s60, s61                                    // 00000000AA4C: 923D3D3C
	s_add_u32 s82, s82, s61                                    // 00000000AA50: 80523D52
	v_mul_lo_u32 v6, v5, s82                                   // 00000000AA54: D2850006 0000A505
	v_readlane_b32 s82, v3, 31                                 // 00000000AA5C: D2890052 00013F03
	s_lshr_b32 s61, s82, 24                                    // 00000000AA64: 8F3D9852
	s_and_b32 s82, s82, 0xffffff                               // 00000000AA68: 8652FF52 00FFFFFF
	s_mul_i32 s82, s82, s71                                    // 00000000AA70: 92524752
	s_mul_i32 s61, s60, s61                                    // 00000000AA74: 923D3D3C
	s_add_u32 s82, s82, s61                                    // 00000000AA78: 80523D52
	v_mul_lo_u32 v7, v4, s82                                   // 00000000AA7C: D2850007 0000A504
	v_add_u32_e32 v83, v6, v7                                  // 00000000AA84: 68A60F06
	v_readlane_b32 s82, v3, 32                                 // 00000000AA88: D2890052 00014103
	s_lshr_b32 s61, s82, 24                                    // 00000000AA90: 8F3D9852
	s_and_b32 s82, s82, 0xffffff                               // 00000000AA94: 8652FF52 00FFFFFF
	s_mul_i32 s82, s82, s71                                    // 00000000AA9C: 92524752
	s_mul_i32 s61, s60, s61                                    // 00000000AAA0: 923D3D3C
	s_add_u32 s82, s82, s61                                    // 00000000AAA4: 80523D52
	v_mul_lo_u32 v6, v5, s82                                   // 00000000AAA8: D2850006 0000A505
	v_readlane_b32 s82, v3, 33                                 // 00000000AAB0: D2890052 00014303
	s_lshr_b32 s61, s82, 24                                    // 00000000AAB8: 8F3D9852
	s_and_b32 s82, s82, 0xffffff                               // 00000000AABC: 8652FF52 00FFFFFF
	s_mul_i32 s82, s82, s71                                    // 00000000AAC4: 92524752
	s_mul_i32 s61, s60, s61                                    // 00000000AAC8: 923D3D3C
	s_add_u32 s82, s82, s61                                    // 00000000AACC: 80523D52
	v_mul_lo_u32 v7, v4, s82                                   // 00000000AAD0: D2850007 0000A504
	v_add_u32_e32 v84, v6, v7                                  // 00000000AAD8: 68A80F06
	v_readlane_b32 s82, v3, 34                                 // 00000000AADC: D2890052 00014503
	s_lshr_b32 s61, s82, 24                                    // 00000000AAE4: 8F3D9852
	s_and_b32 s82, s82, 0xffffff                               // 00000000AAE8: 8652FF52 00FFFFFF
	s_mul_i32 s82, s82, s71                                    // 00000000AAF0: 92524752
	s_mul_i32 s61, s60, s61                                    // 00000000AAF4: 923D3D3C
	s_add_u32 s82, s82, s61                                    // 00000000AAF8: 80523D52
	v_mul_lo_u32 v6, v5, s82                                   // 00000000AAFC: D2850006 0000A505
	v_readlane_b32 s82, v3, 35                                 // 00000000AB04: D2890052 00014703
	s_lshr_b32 s61, s82, 24                                    // 00000000AB0C: 8F3D9852
	s_and_b32 s82, s82, 0xffffff                               // 00000000AB10: 8652FF52 00FFFFFF
	s_mul_i32 s82, s82, s71                                    // 00000000AB18: 92524752
	s_mul_i32 s61, s60, s61                                    // 00000000AB1C: 923D3D3C
	s_add_u32 s82, s82, s61                                    // 00000000AB20: 80523D52
	v_mul_lo_u32 v7, v4, s82                                   // 00000000AB24: D2850007 0000A504
	v_add_u32_e32 v85, v6, v7                                  // 00000000AB2C: 68AA0F06
	v_readlane_b32 s82, v3, 36                                 // 00000000AB30: D2890052 00014903
	s_lshr_b32 s61, s82, 24                                    // 00000000AB38: 8F3D9852
	s_and_b32 s82, s82, 0xffffff                               // 00000000AB3C: 8652FF52 00FFFFFF
	s_mul_i32 s82, s82, s71                                    // 00000000AB44: 92524752
	s_mul_i32 s61, s60, s61                                    // 00000000AB48: 923D3D3C
	s_add_u32 s82, s82, s61                                    // 00000000AB4C: 80523D52
	v_mul_lo_u32 v6, v5, s82                                   // 00000000AB50: D2850006 0000A505
	v_readlane_b32 s82, v3, 37                                 // 00000000AB58: D2890052 00014B03
	s_lshr_b32 s61, s82, 24                                    // 00000000AB60: 8F3D9852
	s_and_b32 s82, s82, 0xffffff                               // 00000000AB64: 8652FF52 00FFFFFF
	s_mul_i32 s82, s82, s71                                    // 00000000AB6C: 92524752
	s_mul_i32 s61, s60, s61                                    // 00000000AB70: 923D3D3C
	s_add_u32 s82, s82, s61                                    // 00000000AB74: 80523D52
	v_mul_lo_u32 v7, v4, s82                                   // 00000000AB78: D2850007 0000A504
	v_add_u32_e32 v86, v6, v7                                  // 00000000AB80: 68AC0F06
	v_readlane_b32 s82, v3, 38                                 // 00000000AB84: D2890052 00014D03
	s_lshr_b32 s61, s82, 24                                    // 00000000AB8C: 8F3D9852
	s_and_b32 s82, s82, 0xffffff                               // 00000000AB90: 8652FF52 00FFFFFF
	s_mul_i32 s82, s82, s71                                    // 00000000AB98: 92524752
	s_mul_i32 s61, s60, s61                                    // 00000000AB9C: 923D3D3C
	s_add_u32 s82, s82, s61                                    // 00000000ABA0: 80523D52
	v_mul_lo_u32 v6, v5, s82                                   // 00000000ABA4: D2850006 0000A505
	v_readlane_b32 s82, v3, 39                                 // 00000000ABAC: D2890052 00014F03
	s_lshr_b32 s61, s82, 24                                    // 00000000ABB4: 8F3D9852
	s_and_b32 s82, s82, 0xffffff                               // 00000000ABB8: 8652FF52 00FFFFFF
	s_mul_i32 s82, s82, s71                                    // 00000000ABC0: 92524752
	s_mul_i32 s61, s60, s61                                    // 00000000ABC4: 923D3D3C
	s_add_u32 s82, s82, s61                                    // 00000000ABC8: 80523D52
	v_mul_lo_u32 v7, v4, s82                                   // 00000000ABCC: D2850007 0000A504
	v_add_u32_e32 v87, v6, v7                                  // 00000000ABD4: 68AE0F06
	v_and_b32_e32 v4, 31, v0                                   // 00000000ABD8: 2608009F
	v_lshrrev_b32_e32 v4, 1, v4                                // 00000000ABDC: 20080881
	s_cmp_eq_u32 s88, 0                                        // 00000000ABE0: BF068058
	s_cselect_b32 s61, 2, 4                                    // 00000000ABE4: 853D8482
	v_mul_lo_u32 v4, v4, s61                                   // 00000000ABE8: D2850004 00007B04
	v_and_b32_e64 v5, v0, 1                                    // 00000000ABF0: D1130005 00010300
	v_add_u32_e32 v4, v4, v5                                   // 00000000ABF8: 68080B04
	v_lshlrev_b32_e32 v4, 2, v4                                // 00000000ABFC: 24080882
	v_add_u32_e32 v68, v68, v4                                 // 00000000AC00: 68880944
	v_add_u32_e32 v69, v69, v4                                 // 00000000AC04: 688A0945
	v_add_u32_e32 v70, v70, v4                                 // 00000000AC08: 688C0946
	v_add_u32_e32 v71, v71, v4                                 // 00000000AC0C: 688E0947
	v_add_u32_e32 v72, v72, v4                                 // 00000000AC10: 68900948
	v_add_u32_e32 v73, v73, v4                                 // 00000000AC14: 68920949
	v_add_u32_e32 v74, v74, v4                                 // 00000000AC18: 6894094A
	v_add_u32_e32 v75, v75, v4                                 // 00000000AC1C: 6896094B
	v_add_u32_e32 v76, v76, v4                                 // 00000000AC20: 6898094C
	v_add_u32_e32 v77, v77, v4                                 // 00000000AC24: 689A094D
	v_add_u32_e32 v78, v78, v4                                 // 00000000AC28: 689C094E
	v_add_u32_e32 v79, v79, v4                                 // 00000000AC2C: 689E094F
	v_add_u32_e32 v80, v80, v4                                 // 00000000AC30: 68A00950
	v_add_u32_e32 v81, v81, v4                                 // 00000000AC34: 68A20951
	v_add_u32_e32 v82, v82, v4                                 // 00000000AC38: 68A40952
	v_add_u32_e32 v83, v83, v4                                 // 00000000AC3C: 68A60953
	v_add_u32_e32 v84, v84, v4                                 // 00000000AC40: 68A80954
	v_add_u32_e32 v85, v85, v4                                 // 00000000AC44: 68AA0955
	v_add_u32_e32 v86, v86, v4                                 // 00000000AC48: 68AC0956
	v_add_u32_e32 v87, v87, v4                                 // 00000000AC4C: 68AE0957
	s_waitcnt lgkmcnt(0)                                       // 00000000AC50: BF8CC07F
	s_barrier                                                  // 00000000AC54: BF8A0000
	ds_read_b32 v92, v21                                       // 00000000AC58: D86C0000 5C000015
	ds_read_b32 v93, v21 offset:64                             // 00000000AC60: D86C0040 5D000015
	ds_read_b32 v94, v21 offset:2176                           // 00000000AC68: D86C0880 5E000015
	ds_read_b32 v95, v21 offset:2240                           // 00000000AC70: D86C08C0 5F000015
	ds_read_b32 v96, v21 offset:4352                           // 00000000AC78: D86C1100 60000015
	ds_read_b32 v97, v21 offset:4416                           // 00000000AC80: D86C1140 61000015
	ds_read_b32 v98, v21 offset:6528                           // 00000000AC88: D86C1980 62000015
	ds_read_b32 v99, v21 offset:6592                           // 00000000AC90: D86C19C0 63000015
	ds_read_b32 v100, v21 offset:8704                          // 00000000AC98: D86C2200 64000015
	ds_read_b32 v101, v21 offset:8768                          // 00000000ACA0: D86C2240 65000015
	ds_read_b32 v102, v21 offset:10880                         // 00000000ACA8: D86C2A80 66000015
	ds_read_b32 v103, v21 offset:10944                         // 00000000ACB0: D86C2AC0 67000015
	ds_read_b32 v104, v21 offset:13056                         // 00000000ACB8: D86C3300 68000015
	ds_read_b32 v105, v21 offset:13120                         // 00000000ACC0: D86C3340 69000015
	ds_read_b32 v106, v21 offset:15232                         // 00000000ACC8: D86C3B80 6A000015
	ds_read_b32 v107, v21 offset:15296                         // 00000000ACD0: D86C3BC0 6B000015
	ds_read_b32 v108, v21 offset:17408                         // 00000000ACD8: D86C4400 6C000015
	ds_read_b32 v109, v21 offset:17472                         // 00000000ACE0: D86C4440 6D000015
	ds_read_b32 v110, v21 offset:19584                         // 00000000ACE8: D86C4C80 6E000015
	ds_read_b32 v111, v21 offset:19648                         // 00000000ACF0: D86C4CC0 6F000015
	s_waitcnt lgkmcnt(0)                                       // 00000000ACF8: BF8CC07F
	s_mov_b32 s36, -1                                          // 00000000ACFC: BEA400C1
	s_mov_b32 s37, -1                                          // 00000000AD00: BEA500C1
	v_mov_b32_e32 v7, 0                                        // 00000000AD04: 7E0E0280
	s_or_b32 s9, s9, 0x40000                                   // 00000000AD08: 8709FF09 00040000
	s_mov_b64 exec, s[36:37]                                   // 00000000AD10: BEFE0124
	v_mov_b32_e32 v6, v68                                      // 00000000AD14: 7E0C0344
	s_mov_b64 s[60:61], 0                                      // 00000000AD18: BEBC0180
	v_readlane_b32 s82, v3, 0                                  // 00000000AD1C: D2890052 00010103
	s_and_b32 s82, s82, 0xffffff                               // 00000000AD24: 8652FF52 00FFFFFF
	s_cmp_lt_u32 s82, s66                                      // 00000000AD2C: BF0A4252
	s_cselect_b32 s20, s36, s60                                // 00000000AD30: 85143C24
	v_readlane_b32 s82, v3, 1                                  // 00000000AD34: D2890052 00010303
	s_and_b32 s82, s82, 0xffffff                               // 00000000AD3C: 8652FF52 00FFFFFF
	s_cmp_lt_u32 s82, s66                                      // 00000000AD44: BF0A4252
	s_cselect_b32 s21, s36, s60                                // 00000000AD48: 85153C24
	s_mov_b64 exec, s[20:21]                                   // 00000000AD4C: BEFE0114
	buffer_store_dword v92, v6, s[8:11], 0 offen               // 00000000AD50: E0701000 80025C06
	s_mov_b64 exec, s[36:37]                                   // 00000000AD58: BEFE0124
	v_mov_b32_e32 v6, v69                                      // 00000000AD5C: 7E0C0345
	s_mov_b64 s[60:61], 0                                      // 00000000AD60: BEBC0180
	v_readlane_b32 s82, v3, 2                                  // 00000000AD64: D2890052 00010503
	s_and_b32 s82, s82, 0xffffff                               // 00000000AD6C: 8652FF52 00FFFFFF
	s_cmp_lt_u32 s82, s66                                      // 00000000AD74: BF0A4252
	s_cselect_b32 s20, s36, s60                                // 00000000AD78: 85143C24
	v_readlane_b32 s82, v3, 3                                  // 00000000AD7C: D2890052 00010703
	s_and_b32 s82, s82, 0xffffff                               // 00000000AD84: 8652FF52 00FFFFFF
	s_cmp_lt_u32 s82, s66                                      // 00000000AD8C: BF0A4252
	s_cselect_b32 s21, s36, s60                                // 00000000AD90: 85153C24
	s_mov_b64 exec, s[20:21]                                   // 00000000AD94: BEFE0114
	buffer_store_dword v93, v6, s[8:11], 0 offen               // 00000000AD98: E0701000 80025D06
	s_mov_b64 exec, s[36:37]                                   // 00000000ADA0: BEFE0124
	v_mov_b32_e32 v6, v70                                      // 00000000ADA4: 7E0C0346
	s_mov_b64 s[60:61], 0                                      // 00000000ADA8: BEBC0180
	v_readlane_b32 s82, v3, 4                                  // 00000000ADAC: D2890052 00010903
	s_and_b32 s82, s82, 0xffffff                               // 00000000ADB4: 8652FF52 00FFFFFF
	s_cmp_lt_u32 s82, s66                                      // 00000000ADBC: BF0A4252
	s_cselect_b32 s20, s36, s60                                // 00000000ADC0: 85143C24
	v_readlane_b32 s82, v3, 5                                  // 00000000ADC4: D2890052 00010B03
	s_and_b32 s82, s82, 0xffffff                               // 00000000ADCC: 8652FF52 00FFFFFF
	s_cmp_lt_u32 s82, s66                                      // 00000000ADD4: BF0A4252
	s_cselect_b32 s21, s36, s60                                // 00000000ADD8: 85153C24
	s_mov_b64 exec, s[20:21]                                   // 00000000ADDC: BEFE0114
	buffer_store_dword v94, v6, s[8:11], 0 offen               // 00000000ADE0: E0701000 80025E06
	s_mov_b64 exec, s[36:37]                                   // 00000000ADE8: BEFE0124
	v_mov_b32_e32 v6, v71                                      // 00000000ADEC: 7E0C0347
	s_mov_b64 s[60:61], 0                                      // 00000000ADF0: BEBC0180
	v_readlane_b32 s82, v3, 6                                  // 00000000ADF4: D2890052 00010D03
	s_and_b32 s82, s82, 0xffffff                               // 00000000ADFC: 8652FF52 00FFFFFF
	s_cmp_lt_u32 s82, s66                                      // 00000000AE04: BF0A4252
	s_cselect_b32 s20, s36, s60                                // 00000000AE08: 85143C24
	v_readlane_b32 s82, v3, 7                                  // 00000000AE0C: D2890052 00010F03
	s_and_b32 s82, s82, 0xffffff                               // 00000000AE14: 8652FF52 00FFFFFF
	s_cmp_lt_u32 s82, s66                                      // 00000000AE1C: BF0A4252
	s_cselect_b32 s21, s36, s60                                // 00000000AE20: 85153C24
	s_mov_b64 exec, s[20:21]                                   // 00000000AE24: BEFE0114
	buffer_store_dword v95, v6, s[8:11], 0 offen               // 00000000AE28: E0701000 80025F06
	s_mov_b64 exec, s[36:37]                                   // 00000000AE30: BEFE0124
	v_mov_b32_e32 v6, v72                                      // 00000000AE34: 7E0C0348
	s_mov_b64 s[60:61], 0                                      // 00000000AE38: BEBC0180
	v_readlane_b32 s82, v3, 8                                  // 00000000AE3C: D2890052 00011103
	s_and_b32 s82, s82, 0xffffff                               // 00000000AE44: 8652FF52 00FFFFFF
	s_cmp_lt_u32 s82, s66                                      // 00000000AE4C: BF0A4252
	s_cselect_b32 s20, s36, s60                                // 00000000AE50: 85143C24
	v_readlane_b32 s82, v3, 9                                  // 00000000AE54: D2890052 00011303
	s_and_b32 s82, s82, 0xffffff                               // 00000000AE5C: 8652FF52 00FFFFFF
	s_cmp_lt_u32 s82, s66                                      // 00000000AE64: BF0A4252
	s_cselect_b32 s21, s36, s60                                // 00000000AE68: 85153C24
	s_mov_b64 exec, s[20:21]                                   // 00000000AE6C: BEFE0114
	buffer_store_dword v96, v6, s[8:11], 0 offen               // 00000000AE70: E0701000 80026006
	s_mov_b64 exec, s[36:37]                                   // 00000000AE78: BEFE0124
	v_mov_b32_e32 v6, v73                                      // 00000000AE7C: 7E0C0349
	s_mov_b64 s[60:61], 0                                      // 00000000AE80: BEBC0180
	v_readlane_b32 s82, v3, 10                                 // 00000000AE84: D2890052 00011503
	s_and_b32 s82, s82, 0xffffff                               // 00000000AE8C: 8652FF52 00FFFFFF
	s_cmp_lt_u32 s82, s66                                      // 00000000AE94: BF0A4252
	s_cselect_b32 s20, s36, s60                                // 00000000AE98: 85143C24
	v_readlane_b32 s82, v3, 11                                 // 00000000AE9C: D2890052 00011703
	s_and_b32 s82, s82, 0xffffff                               // 00000000AEA4: 8652FF52 00FFFFFF
	s_cmp_lt_u32 s82, s66                                      // 00000000AEAC: BF0A4252
	s_cselect_b32 s21, s36, s60                                // 00000000AEB0: 85153C24
	s_mov_b64 exec, s[20:21]                                   // 00000000AEB4: BEFE0114
	buffer_store_dword v97, v6, s[8:11], 0 offen               // 00000000AEB8: E0701000 80026106
	s_mov_b64 exec, s[36:37]                                   // 00000000AEC0: BEFE0124
	v_mov_b32_e32 v6, v74                                      // 00000000AEC4: 7E0C034A
	s_mov_b64 s[60:61], 0                                      // 00000000AEC8: BEBC0180
	v_readlane_b32 s82, v3, 12                                 // 00000000AECC: D2890052 00011903
	s_and_b32 s82, s82, 0xffffff                               // 00000000AED4: 8652FF52 00FFFFFF
	s_cmp_lt_u32 s82, s66                                      // 00000000AEDC: BF0A4252
	s_cselect_b32 s20, s36, s60                                // 00000000AEE0: 85143C24
	v_readlane_b32 s82, v3, 13                                 // 00000000AEE4: D2890052 00011B03
	s_and_b32 s82, s82, 0xffffff                               // 00000000AEEC: 8652FF52 00FFFFFF
	s_cmp_lt_u32 s82, s66                                      // 00000000AEF4: BF0A4252
	s_cselect_b32 s21, s36, s60                                // 00000000AEF8: 85153C24
	s_mov_b64 exec, s[20:21]                                   // 00000000AEFC: BEFE0114
	buffer_store_dword v98, v6, s[8:11], 0 offen               // 00000000AF00: E0701000 80026206
	s_mov_b64 exec, s[36:37]                                   // 00000000AF08: BEFE0124
	v_mov_b32_e32 v6, v75                                      // 00000000AF0C: 7E0C034B
	s_mov_b64 s[60:61], 0                                      // 00000000AF10: BEBC0180
	v_readlane_b32 s82, v3, 14                                 // 00000000AF14: D2890052 00011D03
	s_and_b32 s82, s82, 0xffffff                               // 00000000AF1C: 8652FF52 00FFFFFF
	s_cmp_lt_u32 s82, s66                                      // 00000000AF24: BF0A4252
	s_cselect_b32 s20, s36, s60                                // 00000000AF28: 85143C24
	v_readlane_b32 s82, v3, 15                                 // 00000000AF2C: D2890052 00011F03
	s_and_b32 s82, s82, 0xffffff                               // 00000000AF34: 8652FF52 00FFFFFF
	s_cmp_lt_u32 s82, s66                                      // 00000000AF3C: BF0A4252
	s_cselect_b32 s21, s36, s60                                // 00000000AF40: 85153C24
	s_mov_b64 exec, s[20:21]                                   // 00000000AF44: BEFE0114
	buffer_store_dword v99, v6, s[8:11], 0 offen               // 00000000AF48: E0701000 80026306
	s_mov_b64 exec, s[36:37]                                   // 00000000AF50: BEFE0124
	v_mov_b32_e32 v6, v76                                      // 00000000AF54: 7E0C034C
	s_mov_b64 s[60:61], 0                                      // 00000000AF58: BEBC0180
	v_readlane_b32 s82, v3, 16                                 // 00000000AF5C: D2890052 00012103
	s_and_b32 s82, s82, 0xffffff                               // 00000000AF64: 8652FF52 00FFFFFF
	s_cmp_lt_u32 s82, s66                                      // 00000000AF6C: BF0A4252
	s_cselect_b32 s20, s36, s60                                // 00000000AF70: 85143C24
	v_readlane_b32 s82, v3, 17                                 // 00000000AF74: D2890052 00012303
	s_and_b32 s82, s82, 0xffffff                               // 00000000AF7C: 8652FF52 00FFFFFF
	s_cmp_lt_u32 s82, s66                                      // 00000000AF84: BF0A4252
	s_cselect_b32 s21, s36, s60                                // 00000000AF88: 85153C24
	s_mov_b64 exec, s[20:21]                                   // 00000000AF8C: BEFE0114
	buffer_store_dword v100, v6, s[8:11], 0 offen              // 00000000AF90: E0701000 80026406
	s_mov_b64 exec, s[36:37]                                   // 00000000AF98: BEFE0124
	v_mov_b32_e32 v6, v77                                      // 00000000AF9C: 7E0C034D
	s_mov_b64 s[60:61], 0                                      // 00000000AFA0: BEBC0180
	v_readlane_b32 s82, v3, 18                                 // 00000000AFA4: D2890052 00012503
	s_and_b32 s82, s82, 0xffffff                               // 00000000AFAC: 8652FF52 00FFFFFF
	s_cmp_lt_u32 s82, s66                                      // 00000000AFB4: BF0A4252
	s_cselect_b32 s20, s36, s60                                // 00000000AFB8: 85143C24
	v_readlane_b32 s82, v3, 19                                 // 00000000AFBC: D2890052 00012703
	s_and_b32 s82, s82, 0xffffff                               // 00000000AFC4: 8652FF52 00FFFFFF
	s_cmp_lt_u32 s82, s66                                      // 00000000AFCC: BF0A4252
	s_cselect_b32 s21, s36, s60                                // 00000000AFD0: 85153C24
	s_mov_b64 exec, s[20:21]                                   // 00000000AFD4: BEFE0114
	buffer_store_dword v101, v6, s[8:11], 0 offen              // 00000000AFD8: E0701000 80026506
	s_mov_b64 exec, s[36:37]                                   // 00000000AFE0: BEFE0124
	v_mov_b32_e32 v6, v78                                      // 00000000AFE4: 7E0C034E
	s_mov_b64 s[60:61], 0                                      // 00000000AFE8: BEBC0180
	v_readlane_b32 s82, v3, 20                                 // 00000000AFEC: D2890052 00012903
	s_and_b32 s82, s82, 0xffffff                               // 00000000AFF4: 8652FF52 00FFFFFF
	s_cmp_lt_u32 s82, s66                                      // 00000000AFFC: BF0A4252
	s_cselect_b32 s20, s36, s60                                // 00000000B000: 85143C24
	v_readlane_b32 s82, v3, 21                                 // 00000000B004: D2890052 00012B03
	s_and_b32 s82, s82, 0xffffff                               // 00000000B00C: 8652FF52 00FFFFFF
	s_cmp_lt_u32 s82, s66                                      // 00000000B014: BF0A4252
	s_cselect_b32 s21, s36, s60                                // 00000000B018: 85153C24
	s_mov_b64 exec, s[20:21]                                   // 00000000B01C: BEFE0114
	buffer_store_dword v102, v6, s[8:11], 0 offen              // 00000000B020: E0701000 80026606
	s_mov_b64 exec, s[36:37]                                   // 00000000B028: BEFE0124
	v_mov_b32_e32 v6, v79                                      // 00000000B02C: 7E0C034F
	s_mov_b64 s[60:61], 0                                      // 00000000B030: BEBC0180
	v_readlane_b32 s82, v3, 22                                 // 00000000B034: D2890052 00012D03
	s_and_b32 s82, s82, 0xffffff                               // 00000000B03C: 8652FF52 00FFFFFF
	s_cmp_lt_u32 s82, s66                                      // 00000000B044: BF0A4252
	s_cselect_b32 s20, s36, s60                                // 00000000B048: 85143C24
	v_readlane_b32 s82, v3, 23                                 // 00000000B04C: D2890052 00012F03
	s_and_b32 s82, s82, 0xffffff                               // 00000000B054: 8652FF52 00FFFFFF
	s_cmp_lt_u32 s82, s66                                      // 00000000B05C: BF0A4252
	s_cselect_b32 s21, s36, s60                                // 00000000B060: 85153C24
	s_mov_b64 exec, s[20:21]                                   // 00000000B064: BEFE0114
	buffer_store_dword v103, v6, s[8:11], 0 offen              // 00000000B068: E0701000 80026706
	s_mov_b64 exec, s[36:37]                                   // 00000000B070: BEFE0124
	v_mov_b32_e32 v6, v80                                      // 00000000B074: 7E0C0350
	s_mov_b64 s[60:61], 0                                      // 00000000B078: BEBC0180
	v_readlane_b32 s82, v3, 24                                 // 00000000B07C: D2890052 00013103
	s_and_b32 s82, s82, 0xffffff                               // 00000000B084: 8652FF52 00FFFFFF
	s_cmp_lt_u32 s82, s66                                      // 00000000B08C: BF0A4252
	s_cselect_b32 s20, s36, s60                                // 00000000B090: 85143C24
	v_readlane_b32 s82, v3, 25                                 // 00000000B094: D2890052 00013303
	s_and_b32 s82, s82, 0xffffff                               // 00000000B09C: 8652FF52 00FFFFFF
	s_cmp_lt_u32 s82, s66                                      // 00000000B0A4: BF0A4252
	s_cselect_b32 s21, s36, s60                                // 00000000B0A8: 85153C24
	s_mov_b64 exec, s[20:21]                                   // 00000000B0AC: BEFE0114
	buffer_store_dword v104, v6, s[8:11], 0 offen              // 00000000B0B0: E0701000 80026806
	s_mov_b64 exec, s[36:37]                                   // 00000000B0B8: BEFE0124
	v_mov_b32_e32 v6, v81                                      // 00000000B0BC: 7E0C0351
	s_mov_b64 s[60:61], 0                                      // 00000000B0C0: BEBC0180
	v_readlane_b32 s82, v3, 26                                 // 00000000B0C4: D2890052 00013503
	s_and_b32 s82, s82, 0xffffff                               // 00000000B0CC: 8652FF52 00FFFFFF
	s_cmp_lt_u32 s82, s66                                      // 00000000B0D4: BF0A4252
	s_cselect_b32 s20, s36, s60                                // 00000000B0D8: 85143C24
	v_readlane_b32 s82, v3, 27                                 // 00000000B0DC: D2890052 00013703
	s_and_b32 s82, s82, 0xffffff                               // 00000000B0E4: 8652FF52 00FFFFFF
	s_cmp_lt_u32 s82, s66                                      // 00000000B0EC: BF0A4252
	s_cselect_b32 s21, s36, s60                                // 00000000B0F0: 85153C24
	s_mov_b64 exec, s[20:21]                                   // 00000000B0F4: BEFE0114
	buffer_store_dword v105, v6, s[8:11], 0 offen              // 00000000B0F8: E0701000 80026906
	s_mov_b64 exec, s[36:37]                                   // 00000000B100: BEFE0124
	v_mov_b32_e32 v6, v82                                      // 00000000B104: 7E0C0352
	s_mov_b64 s[60:61], 0                                      // 00000000B108: BEBC0180
	v_readlane_b32 s82, v3, 28                                 // 00000000B10C: D2890052 00013903
	s_and_b32 s82, s82, 0xffffff                               // 00000000B114: 8652FF52 00FFFFFF
	s_cmp_lt_u32 s82, s66                                      // 00000000B11C: BF0A4252
	s_cselect_b32 s20, s36, s60                                // 00000000B120: 85143C24
	v_readlane_b32 s82, v3, 29                                 // 00000000B124: D2890052 00013B03
	s_and_b32 s82, s82, 0xffffff                               // 00000000B12C: 8652FF52 00FFFFFF
	s_cmp_lt_u32 s82, s66                                      // 00000000B134: BF0A4252
	s_cselect_b32 s21, s36, s60                                // 00000000B138: 85153C24
	s_mov_b64 exec, s[20:21]                                   // 00000000B13C: BEFE0114
	buffer_store_dword v106, v6, s[8:11], 0 offen              // 00000000B140: E0701000 80026A06
	s_mov_b64 exec, s[36:37]                                   // 00000000B148: BEFE0124
	v_mov_b32_e32 v6, v83                                      // 00000000B14C: 7E0C0353
	s_mov_b64 s[60:61], 0                                      // 00000000B150: BEBC0180
	v_readlane_b32 s82, v3, 30                                 // 00000000B154: D2890052 00013D03
	s_and_b32 s82, s82, 0xffffff                               // 00000000B15C: 8652FF52 00FFFFFF
	s_cmp_lt_u32 s82, s66                                      // 00000000B164: BF0A4252
	s_cselect_b32 s20, s36, s60                                // 00000000B168: 85143C24
	v_readlane_b32 s82, v3, 31                                 // 00000000B16C: D2890052 00013F03
	s_and_b32 s82, s82, 0xffffff                               // 00000000B174: 8652FF52 00FFFFFF
	s_cmp_lt_u32 s82, s66                                      // 00000000B17C: BF0A4252
	s_cselect_b32 s21, s36, s60                                // 00000000B180: 85153C24
	s_mov_b64 exec, s[20:21]                                   // 00000000B184: BEFE0114
	buffer_store_dword v107, v6, s[8:11], 0 offen              // 00000000B188: E0701000 80026B06
	s_mov_b64 exec, s[36:37]                                   // 00000000B190: BEFE0124
	v_mov_b32_e32 v6, v84                                      // 00000000B194: 7E0C0354
	s_mov_b64 s[60:61], 0                                      // 00000000B198: BEBC0180
	v_readlane_b32 s82, v3, 32                                 // 00000000B19C: D2890052 00014103
	s_and_b32 s82, s82, 0xffffff                               // 00000000B1A4: 8652FF52 00FFFFFF
	s_cmp_lt_u32 s82, s66                                      // 00000000B1AC: BF0A4252
	s_cselect_b32 s20, s36, s60                                // 00000000B1B0: 85143C24
	v_readlane_b32 s82, v3, 33                                 // 00000000B1B4: D2890052 00014303
	s_and_b32 s82, s82, 0xffffff                               // 00000000B1BC: 8652FF52 00FFFFFF
	s_cmp_lt_u32 s82, s66                                      // 00000000B1C4: BF0A4252
	s_cselect_b32 s21, s36, s60                                // 00000000B1C8: 85153C24
	s_mov_b64 exec, s[20:21]                                   // 00000000B1CC: BEFE0114
	buffer_store_dword v108, v6, s[8:11], 0 offen              // 00000000B1D0: E0701000 80026C06
	s_mov_b64 exec, s[36:37]                                   // 00000000B1D8: BEFE0124
	v_mov_b32_e32 v6, v85                                      // 00000000B1DC: 7E0C0355
	s_mov_b64 s[60:61], 0                                      // 00000000B1E0: BEBC0180
	v_readlane_b32 s82, v3, 34                                 // 00000000B1E4: D2890052 00014503
	s_and_b32 s82, s82, 0xffffff                               // 00000000B1EC: 8652FF52 00FFFFFF
	s_cmp_lt_u32 s82, s66                                      // 00000000B1F4: BF0A4252
	s_cselect_b32 s20, s36, s60                                // 00000000B1F8: 85143C24
	v_readlane_b32 s82, v3, 35                                 // 00000000B1FC: D2890052 00014703
	s_and_b32 s82, s82, 0xffffff                               // 00000000B204: 8652FF52 00FFFFFF
	s_cmp_lt_u32 s82, s66                                      // 00000000B20C: BF0A4252
	s_cselect_b32 s21, s36, s60                                // 00000000B210: 85153C24
	s_mov_b64 exec, s[20:21]                                   // 00000000B214: BEFE0114
	buffer_store_dword v109, v6, s[8:11], 0 offen              // 00000000B218: E0701000 80026D06
	s_mov_b64 exec, s[36:37]                                   // 00000000B220: BEFE0124
	v_mov_b32_e32 v6, v86                                      // 00000000B224: 7E0C0356
	s_mov_b64 s[60:61], 0                                      // 00000000B228: BEBC0180
	v_readlane_b32 s82, v3, 36                                 // 00000000B22C: D2890052 00014903
	s_and_b32 s82, s82, 0xffffff                               // 00000000B234: 8652FF52 00FFFFFF
	s_cmp_lt_u32 s82, s66                                      // 00000000B23C: BF0A4252
	s_cselect_b32 s20, s36, s60                                // 00000000B240: 85143C24
	v_readlane_b32 s82, v3, 37                                 // 00000000B244: D2890052 00014B03
	s_and_b32 s82, s82, 0xffffff                               // 00000000B24C: 8652FF52 00FFFFFF
	s_cmp_lt_u32 s82, s66                                      // 00000000B254: BF0A4252
	s_cselect_b32 s21, s36, s60                                // 00000000B258: 85153C24
	s_mov_b64 exec, s[20:21]                                   // 00000000B25C: BEFE0114
	buffer_store_dword v110, v6, s[8:11], 0 offen              // 00000000B260: E0701000 80026E06
	s_mov_b64 exec, s[36:37]                                   // 00000000B268: BEFE0124
	v_mov_b32_e32 v6, v87                                      // 00000000B26C: 7E0C0357
	s_mov_b64 s[60:61], 0                                      // 00000000B270: BEBC0180
	v_readlane_b32 s82, v3, 38                                 // 00000000B274: D2890052 00014D03
	s_and_b32 s82, s82, 0xffffff                               // 00000000B27C: 8652FF52 00FFFFFF
	s_cmp_lt_u32 s82, s66                                      // 00000000B284: BF0A4252
	s_cselect_b32 s20, s36, s60                                // 00000000B288: 85143C24
	v_readlane_b32 s82, v3, 39                                 // 00000000B28C: D2890052 00014F03
	s_and_b32 s82, s82, 0xffffff                               // 00000000B294: 8652FF52 00FFFFFF
	s_cmp_lt_u32 s82, s66                                      // 00000000B29C: BF0A4252
	s_cselect_b32 s21, s36, s60                                // 00000000B2A0: 85153C24
	s_mov_b64 exec, s[20:21]                                   // 00000000B2A4: BEFE0114
	buffer_store_dword v111, v6, s[8:11], 0 offen              // 00000000B2A8: E0701000 80026F06
	s_mov_b64 exec, s[36:37]                                   // 00000000B2B0: BEFE0124
	s_branch label_2AA3                                        // 00000000B2B4: BF820872

000000000000b2b8 <label_2231>:
	ds_write_b64 v20, v[92:93]                                 // 00000000B2B8: D89A0000 00005C14
	ds_write_b64 v20, v[96:97] offset:2176                     // 00000000B2C0: D89A0880 00006014
	ds_write_b64 v20, v[100:101] offset:4352                   // 00000000B2C8: D89A1100 00006414
	ds_write_b64 v20, v[104:105] offset:6528                   // 00000000B2D0: D89A1980 00006814
	ds_write_b64 v20, v[108:109] offset:8704                   // 00000000B2D8: D89A2200 00006C14
	ds_write_b64 v20, v[112:113] offset:10880                  // 00000000B2E0: D89A2A80 00007014
	ds_write_b64 v20, v[116:117] offset:13056                  // 00000000B2E8: D89A3300 00007414
	ds_write_b64 v20, v[120:121] offset:15232                  // 00000000B2F0: D89A3B80 00007814
	ds_write_b64 v20, v[124:125] offset:17408                  // 00000000B2F8: D89A4400 00007C14
	ds_write_b64 v20, v[128:129] offset:19584                  // 00000000B300: D89A4C80 00008014
	v_lshrrev_b32_e32 v4, 5, v0                                // 00000000B308: 20080085
	v_xor_b32_e32 v5, 1, v4                                    // 00000000B30C: 2A0A0881
	s_mul_i32 s60, s65, 2                                      // 00000000B310: 923C8241
	s_cmp_eq_u32 s88, 0                                        // 00000000B314: BF068058
	s_cselect_b32 s61, 1, 4                                    // 00000000B318: 853D8481
	s_mul_i32 s60, s61, s60                                    // 00000000B31C: 923C3C3D
	v_readlane_b32 s82, v3, 0                                  // 00000000B320: D2890052 00010103
	s_lshr_b32 s61, s82, 24                                    // 00000000B328: 8F3D9852
	s_and_b32 s82, s82, 0xffffff                               // 00000000B32C: 8652FF52 00FFFFFF
	s_mul_i32 s82, s82, s71                                    // 00000000B334: 92524752
	s_mul_i32 s61, s60, s61                                    // 00000000B338: 923D3D3C
	s_add_u32 s82, s82, s61                                    // 00000000B33C: 80523D52
	v_mul_lo_u32 v6, v5, s82                                   // 00000000B340: D2850006 0000A505
	v_readlane_b32 s82, v3, 1                                  // 00000000B348: D2890052 00010303
	s_lshr_b32 s61, s82, 24                                    // 00000000B350: 8F3D9852
	s_and_b32 s82, s82, 0xffffff                               // 00000000B354: 8652FF52 00FFFFFF
	s_mul_i32 s82, s82, s71                                    // 00000000B35C: 92524752
	s_mul_i32 s61, s60, s61                                    // 00000000B360: 923D3D3C
	s_add_u32 s82, s82, s61                                    // 00000000B364: 80523D52
	v_mul_lo_u32 v7, v4, s82                                   // 00000000B368: D2850007 0000A504
	v_add_u32_e32 v68, v6, v7                                  // 00000000B370: 68880F06
	v_readlane_b32 s82, v3, 2                                  // 00000000B374: D2890052 00010503
	s_lshr_b32 s61, s82, 24                                    // 00000000B37C: 8F3D9852
	s_and_b32 s82, s82, 0xffffff                               // 00000000B380: 8652FF52 00FFFFFF
	s_mul_i32 s82, s82, s71                                    // 00000000B388: 92524752
	s_mul_i32 s61, s60, s61                                    // 00000000B38C: 923D3D3C
	s_add_u32 s82, s82, s61                                    // 00000000B390: 80523D52
	v_mul_lo_u32 v6, v5, s82                                   // 00000000B394: D2850006 0000A505
	v_readlane_b32 s82, v3, 3                                  // 00000000B39C: D2890052 00010703
	s_lshr_b32 s61, s82, 24                                    // 00000000B3A4: 8F3D9852
	s_and_b32 s82, s82, 0xffffff                               // 00000000B3A8: 8652FF52 00FFFFFF
	s_mul_i32 s82, s82, s71                                    // 00000000B3B0: 92524752
	s_mul_i32 s61, s60, s61                                    // 00000000B3B4: 923D3D3C
	s_add_u32 s82, s82, s61                                    // 00000000B3B8: 80523D52
	v_mul_lo_u32 v7, v4, s82                                   // 00000000B3BC: D2850007 0000A504
	v_add_u32_e32 v69, v6, v7                                  // 00000000B3C4: 688A0F06
	v_readlane_b32 s82, v3, 4                                  // 00000000B3C8: D2890052 00010903
	s_lshr_b32 s61, s82, 24                                    // 00000000B3D0: 8F3D9852
	s_and_b32 s82, s82, 0xffffff                               // 00000000B3D4: 8652FF52 00FFFFFF
	s_mul_i32 s82, s82, s71                                    // 00000000B3DC: 92524752
	s_mul_i32 s61, s60, s61                                    // 00000000B3E0: 923D3D3C
	s_add_u32 s82, s82, s61                                    // 00000000B3E4: 80523D52
	v_mul_lo_u32 v6, v5, s82                                   // 00000000B3E8: D2850006 0000A505
	v_readlane_b32 s82, v3, 5                                  // 00000000B3F0: D2890052 00010B03
	s_lshr_b32 s61, s82, 24                                    // 00000000B3F8: 8F3D9852
	s_and_b32 s82, s82, 0xffffff                               // 00000000B3FC: 8652FF52 00FFFFFF
	s_mul_i32 s82, s82, s71                                    // 00000000B404: 92524752
	s_mul_i32 s61, s60, s61                                    // 00000000B408: 923D3D3C
	s_add_u32 s82, s82, s61                                    // 00000000B40C: 80523D52
	v_mul_lo_u32 v7, v4, s82                                   // 00000000B410: D2850007 0000A504
	v_add_u32_e32 v70, v6, v7                                  // 00000000B418: 688C0F06
	v_readlane_b32 s82, v3, 6                                  // 00000000B41C: D2890052 00010D03
	s_lshr_b32 s61, s82, 24                                    // 00000000B424: 8F3D9852
	s_and_b32 s82, s82, 0xffffff                               // 00000000B428: 8652FF52 00FFFFFF
	s_mul_i32 s82, s82, s71                                    // 00000000B430: 92524752
	s_mul_i32 s61, s60, s61                                    // 00000000B434: 923D3D3C
	s_add_u32 s82, s82, s61                                    // 00000000B438: 80523D52
	v_mul_lo_u32 v6, v5, s82                                   // 00000000B43C: D2850006 0000A505
	v_readlane_b32 s82, v3, 7                                  // 00000000B444: D2890052 00010F03
	s_lshr_b32 s61, s82, 24                                    // 00000000B44C: 8F3D9852
	s_and_b32 s82, s82, 0xffffff                               // 00000000B450: 8652FF52 00FFFFFF
	s_mul_i32 s82, s82, s71                                    // 00000000B458: 92524752
	s_mul_i32 s61, s60, s61                                    // 00000000B45C: 923D3D3C
	s_add_u32 s82, s82, s61                                    // 00000000B460: 80523D52
	v_mul_lo_u32 v7, v4, s82                                   // 00000000B464: D2850007 0000A504
	v_add_u32_e32 v71, v6, v7                                  // 00000000B46C: 688E0F06
	v_readlane_b32 s82, v3, 8                                  // 00000000B470: D2890052 00011103
	s_lshr_b32 s61, s82, 24                                    // 00000000B478: 8F3D9852
	s_and_b32 s82, s82, 0xffffff                               // 00000000B47C: 8652FF52 00FFFFFF
	s_mul_i32 s82, s82, s71                                    // 00000000B484: 92524752
	s_mul_i32 s61, s60, s61                                    // 00000000B488: 923D3D3C
	s_add_u32 s82, s82, s61                                    // 00000000B48C: 80523D52
	v_mul_lo_u32 v6, v5, s82                                   // 00000000B490: D2850006 0000A505
	v_readlane_b32 s82, v3, 9                                  // 00000000B498: D2890052 00011303
	s_lshr_b32 s61, s82, 24                                    // 00000000B4A0: 8F3D9852
	s_and_b32 s82, s82, 0xffffff                               // 00000000B4A4: 8652FF52 00FFFFFF
	s_mul_i32 s82, s82, s71                                    // 00000000B4AC: 92524752
	s_mul_i32 s61, s60, s61                                    // 00000000B4B0: 923D3D3C
	s_add_u32 s82, s82, s61                                    // 00000000B4B4: 80523D52
	v_mul_lo_u32 v7, v4, s82                                   // 00000000B4B8: D2850007 0000A504
	v_add_u32_e32 v72, v6, v7                                  // 00000000B4C0: 68900F06
	v_readlane_b32 s82, v3, 10                                 // 00000000B4C4: D2890052 00011503
	s_lshr_b32 s61, s82, 24                                    // 00000000B4CC: 8F3D9852
	s_and_b32 s82, s82, 0xffffff                               // 00000000B4D0: 8652FF52 00FFFFFF
	s_mul_i32 s82, s82, s71                                    // 00000000B4D8: 92524752
	s_mul_i32 s61, s60, s61                                    // 00000000B4DC: 923D3D3C
	s_add_u32 s82, s82, s61                                    // 00000000B4E0: 80523D52
	v_mul_lo_u32 v6, v5, s82                                   // 00000000B4E4: D2850006 0000A505
	v_readlane_b32 s82, v3, 11                                 // 00000000B4EC: D2890052 00011703
	s_lshr_b32 s61, s82, 24                                    // 00000000B4F4: 8F3D9852
	s_and_b32 s82, s82, 0xffffff                               // 00000000B4F8: 8652FF52 00FFFFFF
	s_mul_i32 s82, s82, s71                                    // 00000000B500: 92524752
	s_mul_i32 s61, s60, s61                                    // 00000000B504: 923D3D3C
	s_add_u32 s82, s82, s61                                    // 00000000B508: 80523D52
	v_mul_lo_u32 v7, v4, s82                                   // 00000000B50C: D2850007 0000A504
	v_add_u32_e32 v73, v6, v7                                  // 00000000B514: 68920F06
	v_readlane_b32 s82, v3, 12                                 // 00000000B518: D2890052 00011903
	s_lshr_b32 s61, s82, 24                                    // 00000000B520: 8F3D9852
	s_and_b32 s82, s82, 0xffffff                               // 00000000B524: 8652FF52 00FFFFFF
	s_mul_i32 s82, s82, s71                                    // 00000000B52C: 92524752
	s_mul_i32 s61, s60, s61                                    // 00000000B530: 923D3D3C
	s_add_u32 s82, s82, s61                                    // 00000000B534: 80523D52
	v_mul_lo_u32 v6, v5, s82                                   // 00000000B538: D2850006 0000A505
	v_readlane_b32 s82, v3, 13                                 // 00000000B540: D2890052 00011B03
	s_lshr_b32 s61, s82, 24                                    // 00000000B548: 8F3D9852
	s_and_b32 s82, s82, 0xffffff                               // 00000000B54C: 8652FF52 00FFFFFF
	s_mul_i32 s82, s82, s71                                    // 00000000B554: 92524752
	s_mul_i32 s61, s60, s61                                    // 00000000B558: 923D3D3C
	s_add_u32 s82, s82, s61                                    // 00000000B55C: 80523D52
	v_mul_lo_u32 v7, v4, s82                                   // 00000000B560: D2850007 0000A504
	v_add_u32_e32 v74, v6, v7                                  // 00000000B568: 68940F06
	v_readlane_b32 s82, v3, 14                                 // 00000000B56C: D2890052 00011D03
	s_lshr_b32 s61, s82, 24                                    // 00000000B574: 8F3D9852
	s_and_b32 s82, s82, 0xffffff                               // 00000000B578: 8652FF52 00FFFFFF
	s_mul_i32 s82, s82, s71                                    // 00000000B580: 92524752
	s_mul_i32 s61, s60, s61                                    // 00000000B584: 923D3D3C
	s_add_u32 s82, s82, s61                                    // 00000000B588: 80523D52
	v_mul_lo_u32 v6, v5, s82                                   // 00000000B58C: D2850006 0000A505
	v_readlane_b32 s82, v3, 15                                 // 00000000B594: D2890052 00011F03
	s_lshr_b32 s61, s82, 24                                    // 00000000B59C: 8F3D9852
	s_and_b32 s82, s82, 0xffffff                               // 00000000B5A0: 8652FF52 00FFFFFF
	s_mul_i32 s82, s82, s71                                    // 00000000B5A8: 92524752
	s_mul_i32 s61, s60, s61                                    // 00000000B5AC: 923D3D3C
	s_add_u32 s82, s82, s61                                    // 00000000B5B0: 80523D52
	v_mul_lo_u32 v7, v4, s82                                   // 00000000B5B4: D2850007 0000A504
	v_add_u32_e32 v75, v6, v7                                  // 00000000B5BC: 68960F06
	v_readlane_b32 s82, v3, 16                                 // 00000000B5C0: D2890052 00012103
	s_lshr_b32 s61, s82, 24                                    // 00000000B5C8: 8F3D9852
	s_and_b32 s82, s82, 0xffffff                               // 00000000B5CC: 8652FF52 00FFFFFF
	s_mul_i32 s82, s82, s71                                    // 00000000B5D4: 92524752
	s_mul_i32 s61, s60, s61                                    // 00000000B5D8: 923D3D3C
	s_add_u32 s82, s82, s61                                    // 00000000B5DC: 80523D52
	v_mul_lo_u32 v6, v5, s82                                   // 00000000B5E0: D2850006 0000A505
	v_readlane_b32 s82, v3, 17                                 // 00000000B5E8: D2890052 00012303
	s_lshr_b32 s61, s82, 24                                    // 00000000B5F0: 8F3D9852
	s_and_b32 s82, s82, 0xffffff                               // 00000000B5F4: 8652FF52 00FFFFFF
	s_mul_i32 s82, s82, s71                                    // 00000000B5FC: 92524752
	s_mul_i32 s61, s60, s61                                    // 00000000B600: 923D3D3C
	s_add_u32 s82, s82, s61                                    // 00000000B604: 80523D52
	v_mul_lo_u32 v7, v4, s82                                   // 00000000B608: D2850007 0000A504
	v_add_u32_e32 v76, v6, v7                                  // 00000000B610: 68980F06
	v_readlane_b32 s82, v3, 18                                 // 00000000B614: D2890052 00012503
	s_lshr_b32 s61, s82, 24                                    // 00000000B61C: 8F3D9852
	s_and_b32 s82, s82, 0xffffff                               // 00000000B620: 8652FF52 00FFFFFF
	s_mul_i32 s82, s82, s71                                    // 00000000B628: 92524752
	s_mul_i32 s61, s60, s61                                    // 00000000B62C: 923D3D3C
	s_add_u32 s82, s82, s61                                    // 00000000B630: 80523D52
	v_mul_lo_u32 v6, v5, s82                                   // 00000000B634: D2850006 0000A505
	v_readlane_b32 s82, v3, 19                                 // 00000000B63C: D2890052 00012703
	s_lshr_b32 s61, s82, 24                                    // 00000000B644: 8F3D9852
	s_and_b32 s82, s82, 0xffffff                               // 00000000B648: 8652FF52 00FFFFFF
	s_mul_i32 s82, s82, s71                                    // 00000000B650: 92524752
	s_mul_i32 s61, s60, s61                                    // 00000000B654: 923D3D3C
	s_add_u32 s82, s82, s61                                    // 00000000B658: 80523D52
	v_mul_lo_u32 v7, v4, s82                                   // 00000000B65C: D2850007 0000A504
	v_add_u32_e32 v77, v6, v7                                  // 00000000B664: 689A0F06
	v_readlane_b32 s82, v3, 20                                 // 00000000B668: D2890052 00012903
	s_lshr_b32 s61, s82, 24                                    // 00000000B670: 8F3D9852
	s_and_b32 s82, s82, 0xffffff                               // 00000000B674: 8652FF52 00FFFFFF
	s_mul_i32 s82, s82, s71                                    // 00000000B67C: 92524752
	s_mul_i32 s61, s60, s61                                    // 00000000B680: 923D3D3C
	s_add_u32 s82, s82, s61                                    // 00000000B684: 80523D52
	v_mul_lo_u32 v6, v5, s82                                   // 00000000B688: D2850006 0000A505
	v_readlane_b32 s82, v3, 21                                 // 00000000B690: D2890052 00012B03
	s_lshr_b32 s61, s82, 24                                    // 00000000B698: 8F3D9852
	s_and_b32 s82, s82, 0xffffff                               // 00000000B69C: 8652FF52 00FFFFFF
	s_mul_i32 s82, s82, s71                                    // 00000000B6A4: 92524752
	s_mul_i32 s61, s60, s61                                    // 00000000B6A8: 923D3D3C
	s_add_u32 s82, s82, s61                                    // 00000000B6AC: 80523D52
	v_mul_lo_u32 v7, v4, s82                                   // 00000000B6B0: D2850007 0000A504
	v_add_u32_e32 v78, v6, v7                                  // 00000000B6B8: 689C0F06
	v_readlane_b32 s82, v3, 22                                 // 00000000B6BC: D2890052 00012D03
	s_lshr_b32 s61, s82, 24                                    // 00000000B6C4: 8F3D9852
	s_and_b32 s82, s82, 0xffffff                               // 00000000B6C8: 8652FF52 00FFFFFF
	s_mul_i32 s82, s82, s71                                    // 00000000B6D0: 92524752
	s_mul_i32 s61, s60, s61                                    // 00000000B6D4: 923D3D3C
	s_add_u32 s82, s82, s61                                    // 00000000B6D8: 80523D52
	v_mul_lo_u32 v6, v5, s82                                   // 00000000B6DC: D2850006 0000A505
	v_readlane_b32 s82, v3, 23                                 // 00000000B6E4: D2890052 00012F03
	s_lshr_b32 s61, s82, 24                                    // 00000000B6EC: 8F3D9852
	s_and_b32 s82, s82, 0xffffff                               // 00000000B6F0: 8652FF52 00FFFFFF
	s_mul_i32 s82, s82, s71                                    // 00000000B6F8: 92524752
	s_mul_i32 s61, s60, s61                                    // 00000000B6FC: 923D3D3C
	s_add_u32 s82, s82, s61                                    // 00000000B700: 80523D52
	v_mul_lo_u32 v7, v4, s82                                   // 00000000B704: D2850007 0000A504
	v_add_u32_e32 v79, v6, v7                                  // 00000000B70C: 689E0F06
	v_readlane_b32 s82, v3, 24                                 // 00000000B710: D2890052 00013103
	s_lshr_b32 s61, s82, 24                                    // 00000000B718: 8F3D9852
	s_and_b32 s82, s82, 0xffffff                               // 00000000B71C: 8652FF52 00FFFFFF
	s_mul_i32 s82, s82, s71                                    // 00000000B724: 92524752
	s_mul_i32 s61, s60, s61                                    // 00000000B728: 923D3D3C
	s_add_u32 s82, s82, s61                                    // 00000000B72C: 80523D52
	v_mul_lo_u32 v6, v5, s82                                   // 00000000B730: D2850006 0000A505
	v_readlane_b32 s82, v3, 25                                 // 00000000B738: D2890052 00013303
	s_lshr_b32 s61, s82, 24                                    // 00000000B740: 8F3D9852
	s_and_b32 s82, s82, 0xffffff                               // 00000000B744: 8652FF52 00FFFFFF
	s_mul_i32 s82, s82, s71                                    // 00000000B74C: 92524752
	s_mul_i32 s61, s60, s61                                    // 00000000B750: 923D3D3C
	s_add_u32 s82, s82, s61                                    // 00000000B754: 80523D52
	v_mul_lo_u32 v7, v4, s82                                   // 00000000B758: D2850007 0000A504
	v_add_u32_e32 v80, v6, v7                                  // 00000000B760: 68A00F06
	v_readlane_b32 s82, v3, 26                                 // 00000000B764: D2890052 00013503
	s_lshr_b32 s61, s82, 24                                    // 00000000B76C: 8F3D9852
	s_and_b32 s82, s82, 0xffffff                               // 00000000B770: 8652FF52 00FFFFFF
	s_mul_i32 s82, s82, s71                                    // 00000000B778: 92524752
	s_mul_i32 s61, s60, s61                                    // 00000000B77C: 923D3D3C
	s_add_u32 s82, s82, s61                                    // 00000000B780: 80523D52
	v_mul_lo_u32 v6, v5, s82                                   // 00000000B784: D2850006 0000A505
	v_readlane_b32 s82, v3, 27                                 // 00000000B78C: D2890052 00013703
	s_lshr_b32 s61, s82, 24                                    // 00000000B794: 8F3D9852
	s_and_b32 s82, s82, 0xffffff                               // 00000000B798: 8652FF52 00FFFFFF
	s_mul_i32 s82, s82, s71                                    // 00000000B7A0: 92524752
	s_mul_i32 s61, s60, s61                                    // 00000000B7A4: 923D3D3C
	s_add_u32 s82, s82, s61                                    // 00000000B7A8: 80523D52
	v_mul_lo_u32 v7, v4, s82                                   // 00000000B7AC: D2850007 0000A504
	v_add_u32_e32 v81, v6, v7                                  // 00000000B7B4: 68A20F06
	v_readlane_b32 s82, v3, 28                                 // 00000000B7B8: D2890052 00013903
	s_lshr_b32 s61, s82, 24                                    // 00000000B7C0: 8F3D9852
	s_and_b32 s82, s82, 0xffffff                               // 00000000B7C4: 8652FF52 00FFFFFF
	s_mul_i32 s82, s82, s71                                    // 00000000B7CC: 92524752
	s_mul_i32 s61, s60, s61                                    // 00000000B7D0: 923D3D3C
	s_add_u32 s82, s82, s61                                    // 00000000B7D4: 80523D52
	v_mul_lo_u32 v6, v5, s82                                   // 00000000B7D8: D2850006 0000A505
	v_readlane_b32 s82, v3, 29                                 // 00000000B7E0: D2890052 00013B03
	s_lshr_b32 s61, s82, 24                                    // 00000000B7E8: 8F3D9852
	s_and_b32 s82, s82, 0xffffff                               // 00000000B7EC: 8652FF52 00FFFFFF
	s_mul_i32 s82, s82, s71                                    // 00000000B7F4: 92524752
	s_mul_i32 s61, s60, s61                                    // 00000000B7F8: 923D3D3C
	s_add_u32 s82, s82, s61                                    // 00000000B7FC: 80523D52
	v_mul_lo_u32 v7, v4, s82                                   // 00000000B800: D2850007 0000A504
	v_add_u32_e32 v82, v6, v7                                  // 00000000B808: 68A40F06
	v_readlane_b32 s82, v3, 30                                 // 00000000B80C: D2890052 00013D03
	s_lshr_b32 s61, s82, 24                                    // 00000000B814: 8F3D9852
	s_and_b32 s82, s82, 0xffffff                               // 00000000B818: 8652FF52 00FFFFFF
	s_mul_i32 s82, s82, s71                                    // 00000000B820: 92524752
	s_mul_i32 s61, s60, s61                                    // 00000000B824: 923D3D3C
	s_add_u32 s82, s82, s61                                    // 00000000B828: 80523D52
	v_mul_lo_u32 v6, v5, s82                                   // 00000000B82C: D2850006 0000A505
	v_readlane_b32 s82, v3, 31                                 // 00000000B834: D2890052 00013F03
	s_lshr_b32 s61, s82, 24                                    // 00000000B83C: 8F3D9852
	s_and_b32 s82, s82, 0xffffff                               // 00000000B840: 8652FF52 00FFFFFF
	s_mul_i32 s82, s82, s71                                    // 00000000B848: 92524752
	s_mul_i32 s61, s60, s61                                    // 00000000B84C: 923D3D3C
	s_add_u32 s82, s82, s61                                    // 00000000B850: 80523D52
	v_mul_lo_u32 v7, v4, s82                                   // 00000000B854: D2850007 0000A504
	v_add_u32_e32 v83, v6, v7                                  // 00000000B85C: 68A60F06
	v_readlane_b32 s82, v3, 32                                 // 00000000B860: D2890052 00014103
	s_lshr_b32 s61, s82, 24                                    // 00000000B868: 8F3D9852
	s_and_b32 s82, s82, 0xffffff                               // 00000000B86C: 8652FF52 00FFFFFF
	s_mul_i32 s82, s82, s71                                    // 00000000B874: 92524752
	s_mul_i32 s61, s60, s61                                    // 00000000B878: 923D3D3C
	s_add_u32 s82, s82, s61                                    // 00000000B87C: 80523D52
	v_mul_lo_u32 v6, v5, s82                                   // 00000000B880: D2850006 0000A505
	v_readlane_b32 s82, v3, 33                                 // 00000000B888: D2890052 00014303
	s_lshr_b32 s61, s82, 24                                    // 00000000B890: 8F3D9852
	s_and_b32 s82, s82, 0xffffff                               // 00000000B894: 8652FF52 00FFFFFF
	s_mul_i32 s82, s82, s71                                    // 00000000B89C: 92524752
	s_mul_i32 s61, s60, s61                                    // 00000000B8A0: 923D3D3C
	s_add_u32 s82, s82, s61                                    // 00000000B8A4: 80523D52
	v_mul_lo_u32 v7, v4, s82                                   // 00000000B8A8: D2850007 0000A504
	v_add_u32_e32 v84, v6, v7                                  // 00000000B8B0: 68A80F06
	v_readlane_b32 s82, v3, 34                                 // 00000000B8B4: D2890052 00014503
	s_lshr_b32 s61, s82, 24                                    // 00000000B8BC: 8F3D9852
	s_and_b32 s82, s82, 0xffffff                               // 00000000B8C0: 8652FF52 00FFFFFF
	s_mul_i32 s82, s82, s71                                    // 00000000B8C8: 92524752
	s_mul_i32 s61, s60, s61                                    // 00000000B8CC: 923D3D3C
	s_add_u32 s82, s82, s61                                    // 00000000B8D0: 80523D52
	v_mul_lo_u32 v6, v5, s82                                   // 00000000B8D4: D2850006 0000A505
	v_readlane_b32 s82, v3, 35                                 // 00000000B8DC: D2890052 00014703
	s_lshr_b32 s61, s82, 24                                    // 00000000B8E4: 8F3D9852
	s_and_b32 s82, s82, 0xffffff                               // 00000000B8E8: 8652FF52 00FFFFFF
	s_mul_i32 s82, s82, s71                                    // 00000000B8F0: 92524752
	s_mul_i32 s61, s60, s61                                    // 00000000B8F4: 923D3D3C
	s_add_u32 s82, s82, s61                                    // 00000000B8F8: 80523D52
	v_mul_lo_u32 v7, v4, s82                                   // 00000000B8FC: D2850007 0000A504
	v_add_u32_e32 v85, v6, v7                                  // 00000000B904: 68AA0F06
	v_readlane_b32 s82, v3, 36                                 // 00000000B908: D2890052 00014903
	s_lshr_b32 s61, s82, 24                                    // 00000000B910: 8F3D9852
	s_and_b32 s82, s82, 0xffffff                               // 00000000B914: 8652FF52 00FFFFFF
	s_mul_i32 s82, s82, s71                                    // 00000000B91C: 92524752
	s_mul_i32 s61, s60, s61                                    // 00000000B920: 923D3D3C
	s_add_u32 s82, s82, s61                                    // 00000000B924: 80523D52
	v_mul_lo_u32 v6, v5, s82                                   // 00000000B928: D2850006 0000A505
	v_readlane_b32 s82, v3, 37                                 // 00000000B930: D2890052 00014B03
	s_lshr_b32 s61, s82, 24                                    // 00000000B938: 8F3D9852
	s_and_b32 s82, s82, 0xffffff                               // 00000000B93C: 8652FF52 00FFFFFF
	s_mul_i32 s82, s82, s71                                    // 00000000B944: 92524752
	s_mul_i32 s61, s60, s61                                    // 00000000B948: 923D3D3C
	s_add_u32 s82, s82, s61                                    // 00000000B94C: 80523D52
	v_mul_lo_u32 v7, v4, s82                                   // 00000000B950: D2850007 0000A504
	v_add_u32_e32 v86, v6, v7                                  // 00000000B958: 68AC0F06
	v_readlane_b32 s82, v3, 38                                 // 00000000B95C: D2890052 00014D03
	s_lshr_b32 s61, s82, 24                                    // 00000000B964: 8F3D9852
	s_and_b32 s82, s82, 0xffffff                               // 00000000B968: 8652FF52 00FFFFFF
	s_mul_i32 s82, s82, s71                                    // 00000000B970: 92524752
	s_mul_i32 s61, s60, s61                                    // 00000000B974: 923D3D3C
	s_add_u32 s82, s82, s61                                    // 00000000B978: 80523D52
	v_mul_lo_u32 v6, v5, s82                                   // 00000000B97C: D2850006 0000A505
	v_readlane_b32 s82, v3, 39                                 // 00000000B984: D2890052 00014F03
	s_lshr_b32 s61, s82, 24                                    // 00000000B98C: 8F3D9852
	s_and_b32 s82, s82, 0xffffff                               // 00000000B990: 8652FF52 00FFFFFF
	s_mul_i32 s82, s82, s71                                    // 00000000B998: 92524752
	s_mul_i32 s61, s60, s61                                    // 00000000B99C: 923D3D3C
	s_add_u32 s82, s82, s61                                    // 00000000B9A0: 80523D52
	v_mul_lo_u32 v7, v4, s82                                   // 00000000B9A4: D2850007 0000A504
	v_add_u32_e32 v87, v6, v7                                  // 00000000B9AC: 68AE0F06
	v_and_b32_e32 v4, 31, v0                                   // 00000000B9B0: 2608009F
	v_lshrrev_b32_e32 v4, 1, v4                                // 00000000B9B4: 20080881
	s_cmp_eq_u32 s88, 0                                        // 00000000B9B8: BF068058
	s_cselect_b32 s61, 2, 4                                    // 00000000B9BC: 853D8482
	v_mul_lo_u32 v4, v4, s61                                   // 00000000B9C0: D2850004 00007B04
	v_and_b32_e64 v5, v0, 1                                    // 00000000B9C8: D1130005 00010300
	v_add_u32_e32 v4, v4, v5                                   // 00000000B9D0: 68080B04
	v_lshlrev_b32_e32 v4, 2, v4                                // 00000000B9D4: 24080882
	v_add_u32_e32 v68, v68, v4                                 // 00000000B9D8: 68880944
	v_add_u32_e32 v69, v69, v4                                 // 00000000B9DC: 688A0945
	v_add_u32_e32 v70, v70, v4                                 // 00000000B9E0: 688C0946
	v_add_u32_e32 v71, v71, v4                                 // 00000000B9E4: 688E0947
	v_add_u32_e32 v72, v72, v4                                 // 00000000B9E8: 68900948
	v_add_u32_e32 v73, v73, v4                                 // 00000000B9EC: 68920949
	v_add_u32_e32 v74, v74, v4                                 // 00000000B9F0: 6894094A
	v_add_u32_e32 v75, v75, v4                                 // 00000000B9F4: 6896094B
	v_add_u32_e32 v76, v76, v4                                 // 00000000B9F8: 6898094C
	v_add_u32_e32 v77, v77, v4                                 // 00000000B9FC: 689A094D
	v_add_u32_e32 v78, v78, v4                                 // 00000000BA00: 689C094E
	v_add_u32_e32 v79, v79, v4                                 // 00000000BA04: 689E094F
	v_add_u32_e32 v80, v80, v4                                 // 00000000BA08: 68A00950
	v_add_u32_e32 v81, v81, v4                                 // 00000000BA0C: 68A20951
	v_add_u32_e32 v82, v82, v4                                 // 00000000BA10: 68A40952
	v_add_u32_e32 v83, v83, v4                                 // 00000000BA14: 68A60953
	v_add_u32_e32 v84, v84, v4                                 // 00000000BA18: 68A80954
	v_add_u32_e32 v85, v85, v4                                 // 00000000BA1C: 68AA0955
	v_add_u32_e32 v86, v86, v4                                 // 00000000BA20: 68AC0956
	v_add_u32_e32 v87, v87, v4                                 // 00000000BA24: 68AE0957
	s_waitcnt lgkmcnt(0)                                       // 00000000BA28: BF8CC07F
	s_barrier                                                  // 00000000BA2C: BF8A0000
	ds_read_b32 v92, v21                                       // 00000000BA30: D86C0000 5C000015
	ds_read_b32 v93, v21 offset:64                             // 00000000BA38: D86C0040 5D000015
	ds_read_b32 v96, v21 offset:2176                           // 00000000BA40: D86C0880 60000015
	ds_read_b32 v97, v21 offset:2240                           // 00000000BA48: D86C08C0 61000015
	ds_read_b32 v100, v21 offset:4352                          // 00000000BA50: D86C1100 64000015
	ds_read_b32 v101, v21 offset:4416                          // 00000000BA58: D86C1140 65000015
	ds_read_b32 v104, v21 offset:6528                          // 00000000BA60: D86C1980 68000015
	ds_read_b32 v105, v21 offset:6592                          // 00000000BA68: D86C19C0 69000015
	ds_read_b32 v108, v21 offset:8704                          // 00000000BA70: D86C2200 6C000015
	ds_read_b32 v109, v21 offset:8768                          // 00000000BA78: D86C2240 6D000015
	ds_read_b32 v112, v21 offset:10880                         // 00000000BA80: D86C2A80 70000015
	ds_read_b32 v113, v21 offset:10944                         // 00000000BA88: D86C2AC0 71000015
	ds_read_b32 v116, v21 offset:13056                         // 00000000BA90: D86C3300 74000015
	ds_read_b32 v117, v21 offset:13120                         // 00000000BA98: D86C3340 75000015
	ds_read_b32 v120, v21 offset:15232                         // 00000000BAA0: D86C3B80 78000015
	ds_read_b32 v121, v21 offset:15296                         // 00000000BAA8: D86C3BC0 79000015
	ds_read_b32 v124, v21 offset:17408                         // 00000000BAB0: D86C4400 7C000015
	ds_read_b32 v125, v21 offset:17472                         // 00000000BAB8: D86C4440 7D000015
	ds_read_b32 v128, v21 offset:19584                         // 00000000BAC0: D86C4C80 80000015
	ds_read_b32 v129, v21 offset:19648                         // 00000000BAC8: D86C4CC0 81000015
	s_waitcnt lgkmcnt(0)                                       // 00000000BAD0: BF8CC07F
	s_mov_b32 s36, -1                                          // 00000000BAD4: BEA400C1
	s_mov_b32 s37, -1                                          // 00000000BAD8: BEA500C1
	v_mov_b32_e32 v7, 0                                        // 00000000BADC: 7E0E0280
	s_mov_b64 exec, s[36:37]                                   // 00000000BAE0: BEFE0124
	v_mov_b32_e32 v6, v68                                      // 00000000BAE4: 7E0C0344
	s_mov_b64 s[60:61], 0                                      // 00000000BAE8: BEBC0180
	v_readlane_b32 s82, v3, 0                                  // 00000000BAEC: D2890052 00010103
	s_and_b32 s82, s82, 0xffffff                               // 00000000BAF4: 8652FF52 00FFFFFF
	s_cmp_lt_u32 s82, s66                                      // 00000000BAFC: BF0A4252
	s_cselect_b32 s20, s36, s60                                // 00000000BB00: 85143C24
	v_readlane_b32 s82, v3, 1                                  // 00000000BB04: D2890052 00010303
	s_and_b32 s82, s82, 0xffffff                               // 00000000BB0C: 8652FF52 00FFFFFF
	s_cmp_lt_u32 s82, s66                                      // 00000000BB14: BF0A4252
	s_cselect_b32 s21, s36, s60                                // 00000000BB18: 85153C24
	s_mov_b64 exec, s[20:21]                                   // 00000000BB1C: BEFE0114
	global_atomic_add_f32 v6, v92, s[8:9]                      // 00000000BB20: DD348000 00085C06
	s_mov_b64 exec, s[36:37]                                   // 00000000BB28: BEFE0124
	v_mov_b32_e32 v6, v69                                      // 00000000BB2C: 7E0C0345
	s_mov_b64 s[60:61], 0                                      // 00000000BB30: BEBC0180
	v_readlane_b32 s82, v3, 2                                  // 00000000BB34: D2890052 00010503
	s_and_b32 s82, s82, 0xffffff                               // 00000000BB3C: 8652FF52 00FFFFFF
	s_cmp_lt_u32 s82, s66                                      // 00000000BB44: BF0A4252
	s_cselect_b32 s20, s36, s60                                // 00000000BB48: 85143C24
	v_readlane_b32 s82, v3, 3                                  // 00000000BB4C: D2890052 00010703
	s_and_b32 s82, s82, 0xffffff                               // 00000000BB54: 8652FF52 00FFFFFF
	s_cmp_lt_u32 s82, s66                                      // 00000000BB5C: BF0A4252
	s_cselect_b32 s21, s36, s60                                // 00000000BB60: 85153C24
	s_mov_b64 exec, s[20:21]                                   // 00000000BB64: BEFE0114
	global_atomic_add_f32 v6, v93, s[8:9]                      // 00000000BB68: DD348000 00085D06
	s_mov_b64 exec, s[36:37]                                   // 00000000BB70: BEFE0124
	v_mov_b32_e32 v6, v70                                      // 00000000BB74: 7E0C0346
	s_mov_b64 s[60:61], 0                                      // 00000000BB78: BEBC0180
	v_readlane_b32 s82, v3, 4                                  // 00000000BB7C: D2890052 00010903
	s_and_b32 s82, s82, 0xffffff                               // 00000000BB84: 8652FF52 00FFFFFF
	s_cmp_lt_u32 s82, s66                                      // 00000000BB8C: BF0A4252
	s_cselect_b32 s20, s36, s60                                // 00000000BB90: 85143C24
	v_readlane_b32 s82, v3, 5                                  // 00000000BB94: D2890052 00010B03
	s_and_b32 s82, s82, 0xffffff                               // 00000000BB9C: 8652FF52 00FFFFFF
	s_cmp_lt_u32 s82, s66                                      // 00000000BBA4: BF0A4252
	s_cselect_b32 s21, s36, s60                                // 00000000BBA8: 85153C24
	s_mov_b64 exec, s[20:21]                                   // 00000000BBAC: BEFE0114
	global_atomic_add_f32 v6, v96, s[8:9]                      // 00000000BBB0: DD348000 00086006
	s_mov_b64 exec, s[36:37]                                   // 00000000BBB8: BEFE0124
	v_mov_b32_e32 v6, v71                                      // 00000000BBBC: 7E0C0347
	s_mov_b64 s[60:61], 0                                      // 00000000BBC0: BEBC0180
	v_readlane_b32 s82, v3, 6                                  // 00000000BBC4: D2890052 00010D03
	s_and_b32 s82, s82, 0xffffff                               // 00000000BBCC: 8652FF52 00FFFFFF
	s_cmp_lt_u32 s82, s66                                      // 00000000BBD4: BF0A4252
	s_cselect_b32 s20, s36, s60                                // 00000000BBD8: 85143C24
	v_readlane_b32 s82, v3, 7                                  // 00000000BBDC: D2890052 00010F03
	s_and_b32 s82, s82, 0xffffff                               // 00000000BBE4: 8652FF52 00FFFFFF
	s_cmp_lt_u32 s82, s66                                      // 00000000BBEC: BF0A4252
	s_cselect_b32 s21, s36, s60                                // 00000000BBF0: 85153C24
	s_mov_b64 exec, s[20:21]                                   // 00000000BBF4: BEFE0114
	global_atomic_add_f32 v6, v97, s[8:9]                      // 00000000BBF8: DD348000 00086106
	s_mov_b64 exec, s[36:37]                                   // 00000000BC00: BEFE0124
	v_mov_b32_e32 v6, v72                                      // 00000000BC04: 7E0C0348
	s_mov_b64 s[60:61], 0                                      // 00000000BC08: BEBC0180
	v_readlane_b32 s82, v3, 8                                  // 00000000BC0C: D2890052 00011103
	s_and_b32 s82, s82, 0xffffff                               // 00000000BC14: 8652FF52 00FFFFFF
	s_cmp_lt_u32 s82, s66                                      // 00000000BC1C: BF0A4252
	s_cselect_b32 s20, s36, s60                                // 00000000BC20: 85143C24
	v_readlane_b32 s82, v3, 9                                  // 00000000BC24: D2890052 00011303
	s_and_b32 s82, s82, 0xffffff                               // 00000000BC2C: 8652FF52 00FFFFFF
	s_cmp_lt_u32 s82, s66                                      // 00000000BC34: BF0A4252
	s_cselect_b32 s21, s36, s60                                // 00000000BC38: 85153C24
	s_mov_b64 exec, s[20:21]                                   // 00000000BC3C: BEFE0114
	global_atomic_add_f32 v6, v100, s[8:9]                     // 00000000BC40: DD348000 00086406
	s_mov_b64 exec, s[36:37]                                   // 00000000BC48: BEFE0124
	v_mov_b32_e32 v6, v73                                      // 00000000BC4C: 7E0C0349
	s_mov_b64 s[60:61], 0                                      // 00000000BC50: BEBC0180
	v_readlane_b32 s82, v3, 10                                 // 00000000BC54: D2890052 00011503
	s_and_b32 s82, s82, 0xffffff                               // 00000000BC5C: 8652FF52 00FFFFFF
	s_cmp_lt_u32 s82, s66                                      // 00000000BC64: BF0A4252
	s_cselect_b32 s20, s36, s60                                // 00000000BC68: 85143C24
	v_readlane_b32 s82, v3, 11                                 // 00000000BC6C: D2890052 00011703
	s_and_b32 s82, s82, 0xffffff                               // 00000000BC74: 8652FF52 00FFFFFF
	s_cmp_lt_u32 s82, s66                                      // 00000000BC7C: BF0A4252
	s_cselect_b32 s21, s36, s60                                // 00000000BC80: 85153C24
	s_mov_b64 exec, s[20:21]                                   // 00000000BC84: BEFE0114
	global_atomic_add_f32 v6, v101, s[8:9]                     // 00000000BC88: DD348000 00086506
	s_mov_b64 exec, s[36:37]                                   // 00000000BC90: BEFE0124
	v_mov_b32_e32 v6, v74                                      // 00000000BC94: 7E0C034A
	s_mov_b64 s[60:61], 0                                      // 00000000BC98: BEBC0180
	v_readlane_b32 s82, v3, 12                                 // 00000000BC9C: D2890052 00011903
	s_and_b32 s82, s82, 0xffffff                               // 00000000BCA4: 8652FF52 00FFFFFF
	s_cmp_lt_u32 s82, s66                                      // 00000000BCAC: BF0A4252
	s_cselect_b32 s20, s36, s60                                // 00000000BCB0: 85143C24
	v_readlane_b32 s82, v3, 13                                 // 00000000BCB4: D2890052 00011B03
	s_and_b32 s82, s82, 0xffffff                               // 00000000BCBC: 8652FF52 00FFFFFF
	s_cmp_lt_u32 s82, s66                                      // 00000000BCC4: BF0A4252
	s_cselect_b32 s21, s36, s60                                // 00000000BCC8: 85153C24
	s_mov_b64 exec, s[20:21]                                   // 00000000BCCC: BEFE0114
	global_atomic_add_f32 v6, v104, s[8:9]                     // 00000000BCD0: DD348000 00086806
	s_mov_b64 exec, s[36:37]                                   // 00000000BCD8: BEFE0124
	v_mov_b32_e32 v6, v75                                      // 00000000BCDC: 7E0C034B
	s_mov_b64 s[60:61], 0                                      // 00000000BCE0: BEBC0180
	v_readlane_b32 s82, v3, 14                                 // 00000000BCE4: D2890052 00011D03
	s_and_b32 s82, s82, 0xffffff                               // 00000000BCEC: 8652FF52 00FFFFFF
	s_cmp_lt_u32 s82, s66                                      // 00000000BCF4: BF0A4252
	s_cselect_b32 s20, s36, s60                                // 00000000BCF8: 85143C24
	v_readlane_b32 s82, v3, 15                                 // 00000000BCFC: D2890052 00011F03
	s_and_b32 s82, s82, 0xffffff                               // 00000000BD04: 8652FF52 00FFFFFF
	s_cmp_lt_u32 s82, s66                                      // 00000000BD0C: BF0A4252
	s_cselect_b32 s21, s36, s60                                // 00000000BD10: 85153C24
	s_mov_b64 exec, s[20:21]                                   // 00000000BD14: BEFE0114
	global_atomic_add_f32 v6, v105, s[8:9]                     // 00000000BD18: DD348000 00086906
	s_mov_b64 exec, s[36:37]                                   // 00000000BD20: BEFE0124
	v_mov_b32_e32 v6, v76                                      // 00000000BD24: 7E0C034C
	s_mov_b64 s[60:61], 0                                      // 00000000BD28: BEBC0180
	v_readlane_b32 s82, v3, 16                                 // 00000000BD2C: D2890052 00012103
	s_and_b32 s82, s82, 0xffffff                               // 00000000BD34: 8652FF52 00FFFFFF
	s_cmp_lt_u32 s82, s66                                      // 00000000BD3C: BF0A4252
	s_cselect_b32 s20, s36, s60                                // 00000000BD40: 85143C24
	v_readlane_b32 s82, v3, 17                                 // 00000000BD44: D2890052 00012303
	s_and_b32 s82, s82, 0xffffff                               // 00000000BD4C: 8652FF52 00FFFFFF
	s_cmp_lt_u32 s82, s66                                      // 00000000BD54: BF0A4252
	s_cselect_b32 s21, s36, s60                                // 00000000BD58: 85153C24
	s_mov_b64 exec, s[20:21]                                   // 00000000BD5C: BEFE0114
	global_atomic_add_f32 v6, v108, s[8:9]                     // 00000000BD60: DD348000 00086C06
	s_mov_b64 exec, s[36:37]                                   // 00000000BD68: BEFE0124
	v_mov_b32_e32 v6, v77                                      // 00000000BD6C: 7E0C034D
	s_mov_b64 s[60:61], 0                                      // 00000000BD70: BEBC0180
	v_readlane_b32 s82, v3, 18                                 // 00000000BD74: D2890052 00012503
	s_and_b32 s82, s82, 0xffffff                               // 00000000BD7C: 8652FF52 00FFFFFF
	s_cmp_lt_u32 s82, s66                                      // 00000000BD84: BF0A4252
	s_cselect_b32 s20, s36, s60                                // 00000000BD88: 85143C24
	v_readlane_b32 s82, v3, 19                                 // 00000000BD8C: D2890052 00012703
	s_and_b32 s82, s82, 0xffffff                               // 00000000BD94: 8652FF52 00FFFFFF
	s_cmp_lt_u32 s82, s66                                      // 00000000BD9C: BF0A4252
	s_cselect_b32 s21, s36, s60                                // 00000000BDA0: 85153C24
	s_mov_b64 exec, s[20:21]                                   // 00000000BDA4: BEFE0114
	global_atomic_add_f32 v6, v109, s[8:9]                     // 00000000BDA8: DD348000 00086D06
	s_mov_b64 exec, s[36:37]                                   // 00000000BDB0: BEFE0124
	v_mov_b32_e32 v6, v78                                      // 00000000BDB4: 7E0C034E
	s_mov_b64 s[60:61], 0                                      // 00000000BDB8: BEBC0180
	v_readlane_b32 s82, v3, 20                                 // 00000000BDBC: D2890052 00012903
	s_and_b32 s82, s82, 0xffffff                               // 00000000BDC4: 8652FF52 00FFFFFF
	s_cmp_lt_u32 s82, s66                                      // 00000000BDCC: BF0A4252
	s_cselect_b32 s20, s36, s60                                // 00000000BDD0: 85143C24
	v_readlane_b32 s82, v3, 21                                 // 00000000BDD4: D2890052 00012B03
	s_and_b32 s82, s82, 0xffffff                               // 00000000BDDC: 8652FF52 00FFFFFF
	s_cmp_lt_u32 s82, s66                                      // 00000000BDE4: BF0A4252
	s_cselect_b32 s21, s36, s60                                // 00000000BDE8: 85153C24
	s_mov_b64 exec, s[20:21]                                   // 00000000BDEC: BEFE0114
	global_atomic_add_f32 v6, v112, s[8:9]                     // 00000000BDF0: DD348000 00087006
	s_mov_b64 exec, s[36:37]                                   // 00000000BDF8: BEFE0124
	v_mov_b32_e32 v6, v79                                      // 00000000BDFC: 7E0C034F
	s_mov_b64 s[60:61], 0                                      // 00000000BE00: BEBC0180
	v_readlane_b32 s82, v3, 22                                 // 00000000BE04: D2890052 00012D03
	s_and_b32 s82, s82, 0xffffff                               // 00000000BE0C: 8652FF52 00FFFFFF
	s_cmp_lt_u32 s82, s66                                      // 00000000BE14: BF0A4252
	s_cselect_b32 s20, s36, s60                                // 00000000BE18: 85143C24
	v_readlane_b32 s82, v3, 23                                 // 00000000BE1C: D2890052 00012F03
	s_and_b32 s82, s82, 0xffffff                               // 00000000BE24: 8652FF52 00FFFFFF
	s_cmp_lt_u32 s82, s66                                      // 00000000BE2C: BF0A4252
	s_cselect_b32 s21, s36, s60                                // 00000000BE30: 85153C24
	s_mov_b64 exec, s[20:21]                                   // 00000000BE34: BEFE0114
	global_atomic_add_f32 v6, v113, s[8:9]                     // 00000000BE38: DD348000 00087106
	s_mov_b64 exec, s[36:37]                                   // 00000000BE40: BEFE0124
	v_mov_b32_e32 v6, v80                                      // 00000000BE44: 7E0C0350
	s_mov_b64 s[60:61], 0                                      // 00000000BE48: BEBC0180
	v_readlane_b32 s82, v3, 24                                 // 00000000BE4C: D2890052 00013103
	s_and_b32 s82, s82, 0xffffff                               // 00000000BE54: 8652FF52 00FFFFFF
	s_cmp_lt_u32 s82, s66                                      // 00000000BE5C: BF0A4252
	s_cselect_b32 s20, s36, s60                                // 00000000BE60: 85143C24
	v_readlane_b32 s82, v3, 25                                 // 00000000BE64: D2890052 00013303
	s_and_b32 s82, s82, 0xffffff                               // 00000000BE6C: 8652FF52 00FFFFFF
	s_cmp_lt_u32 s82, s66                                      // 00000000BE74: BF0A4252
	s_cselect_b32 s21, s36, s60                                // 00000000BE78: 85153C24
	s_mov_b64 exec, s[20:21]                                   // 00000000BE7C: BEFE0114
	global_atomic_add_f32 v6, v116, s[8:9]                     // 00000000BE80: DD348000 00087406
	s_mov_b64 exec, s[36:37]                                   // 00000000BE88: BEFE0124
	v_mov_b32_e32 v6, v81                                      // 00000000BE8C: 7E0C0351
	s_mov_b64 s[60:61], 0                                      // 00000000BE90: BEBC0180
	v_readlane_b32 s82, v3, 26                                 // 00000000BE94: D2890052 00013503
	s_and_b32 s82, s82, 0xffffff                               // 00000000BE9C: 8652FF52 00FFFFFF
	s_cmp_lt_u32 s82, s66                                      // 00000000BEA4: BF0A4252
	s_cselect_b32 s20, s36, s60                                // 00000000BEA8: 85143C24
	v_readlane_b32 s82, v3, 27                                 // 00000000BEAC: D2890052 00013703
	s_and_b32 s82, s82, 0xffffff                               // 00000000BEB4: 8652FF52 00FFFFFF
	s_cmp_lt_u32 s82, s66                                      // 00000000BEBC: BF0A4252
	s_cselect_b32 s21, s36, s60                                // 00000000BEC0: 85153C24
	s_mov_b64 exec, s[20:21]                                   // 00000000BEC4: BEFE0114
	global_atomic_add_f32 v6, v117, s[8:9]                     // 00000000BEC8: DD348000 00087506
	s_mov_b64 exec, s[36:37]                                   // 00000000BED0: BEFE0124
	v_mov_b32_e32 v6, v82                                      // 00000000BED4: 7E0C0352
	s_mov_b64 s[60:61], 0                                      // 00000000BED8: BEBC0180
	v_readlane_b32 s82, v3, 28                                 // 00000000BEDC: D2890052 00013903
	s_and_b32 s82, s82, 0xffffff                               // 00000000BEE4: 8652FF52 00FFFFFF
	s_cmp_lt_u32 s82, s66                                      // 00000000BEEC: BF0A4252
	s_cselect_b32 s20, s36, s60                                // 00000000BEF0: 85143C24
	v_readlane_b32 s82, v3, 29                                 // 00000000BEF4: D2890052 00013B03
	s_and_b32 s82, s82, 0xffffff                               // 00000000BEFC: 8652FF52 00FFFFFF
	s_cmp_lt_u32 s82, s66                                      // 00000000BF04: BF0A4252
	s_cselect_b32 s21, s36, s60                                // 00000000BF08: 85153C24
	s_mov_b64 exec, s[20:21]                                   // 00000000BF0C: BEFE0114
	global_atomic_add_f32 v6, v120, s[8:9]                     // 00000000BF10: DD348000 00087806
	s_mov_b64 exec, s[36:37]                                   // 00000000BF18: BEFE0124
	v_mov_b32_e32 v6, v83                                      // 00000000BF1C: 7E0C0353
	s_mov_b64 s[60:61], 0                                      // 00000000BF20: BEBC0180
	v_readlane_b32 s82, v3, 30                                 // 00000000BF24: D2890052 00013D03
	s_and_b32 s82, s82, 0xffffff                               // 00000000BF2C: 8652FF52 00FFFFFF
	s_cmp_lt_u32 s82, s66                                      // 00000000BF34: BF0A4252
	s_cselect_b32 s20, s36, s60                                // 00000000BF38: 85143C24
	v_readlane_b32 s82, v3, 31                                 // 00000000BF3C: D2890052 00013F03
	s_and_b32 s82, s82, 0xffffff                               // 00000000BF44: 8652FF52 00FFFFFF
	s_cmp_lt_u32 s82, s66                                      // 00000000BF4C: BF0A4252
	s_cselect_b32 s21, s36, s60                                // 00000000BF50: 85153C24
	s_mov_b64 exec, s[20:21]                                   // 00000000BF54: BEFE0114
	global_atomic_add_f32 v6, v121, s[8:9]                     // 00000000BF58: DD348000 00087906
	s_mov_b64 exec, s[36:37]                                   // 00000000BF60: BEFE0124
	v_mov_b32_e32 v6, v84                                      // 00000000BF64: 7E0C0354
	s_mov_b64 s[60:61], 0                                      // 00000000BF68: BEBC0180
	v_readlane_b32 s82, v3, 32                                 // 00000000BF6C: D2890052 00014103
	s_and_b32 s82, s82, 0xffffff                               // 00000000BF74: 8652FF52 00FFFFFF
	s_cmp_lt_u32 s82, s66                                      // 00000000BF7C: BF0A4252
	s_cselect_b32 s20, s36, s60                                // 00000000BF80: 85143C24
	v_readlane_b32 s82, v3, 33                                 // 00000000BF84: D2890052 00014303
	s_and_b32 s82, s82, 0xffffff                               // 00000000BF8C: 8652FF52 00FFFFFF
	s_cmp_lt_u32 s82, s66                                      // 00000000BF94: BF0A4252
	s_cselect_b32 s21, s36, s60                                // 00000000BF98: 85153C24
	s_mov_b64 exec, s[20:21]                                   // 00000000BF9C: BEFE0114
	global_atomic_add_f32 v6, v124, s[8:9]                     // 00000000BFA0: DD348000 00087C06
	s_mov_b64 exec, s[36:37]                                   // 00000000BFA8: BEFE0124
	v_mov_b32_e32 v6, v85                                      // 00000000BFAC: 7E0C0355
	s_mov_b64 s[60:61], 0                                      // 00000000BFB0: BEBC0180
	v_readlane_b32 s82, v3, 34                                 // 00000000BFB4: D2890052 00014503
	s_and_b32 s82, s82, 0xffffff                               // 00000000BFBC: 8652FF52 00FFFFFF
	s_cmp_lt_u32 s82, s66                                      // 00000000BFC4: BF0A4252
	s_cselect_b32 s20, s36, s60                                // 00000000BFC8: 85143C24
	v_readlane_b32 s82, v3, 35                                 // 00000000BFCC: D2890052 00014703
	s_and_b32 s82, s82, 0xffffff                               // 00000000BFD4: 8652FF52 00FFFFFF
	s_cmp_lt_u32 s82, s66                                      // 00000000BFDC: BF0A4252
	s_cselect_b32 s21, s36, s60                                // 00000000BFE0: 85153C24
	s_mov_b64 exec, s[20:21]                                   // 00000000BFE4: BEFE0114
	global_atomic_add_f32 v6, v125, s[8:9]                     // 00000000BFE8: DD348000 00087D06
	s_mov_b64 exec, s[36:37]                                   // 00000000BFF0: BEFE0124
	v_mov_b32_e32 v6, v86                                      // 00000000BFF4: 7E0C0356
	s_mov_b64 s[60:61], 0                                      // 00000000BFF8: BEBC0180
	v_readlane_b32 s82, v3, 36                                 // 00000000BFFC: D2890052 00014903
	s_and_b32 s82, s82, 0xffffff                               // 00000000C004: 8652FF52 00FFFFFF
	s_cmp_lt_u32 s82, s66                                      // 00000000C00C: BF0A4252
	s_cselect_b32 s20, s36, s60                                // 00000000C010: 85143C24
	v_readlane_b32 s82, v3, 37                                 // 00000000C014: D2890052 00014B03
	s_and_b32 s82, s82, 0xffffff                               // 00000000C01C: 8652FF52 00FFFFFF
	s_cmp_lt_u32 s82, s66                                      // 00000000C024: BF0A4252
	s_cselect_b32 s21, s36, s60                                // 00000000C028: 85153C24
	s_mov_b64 exec, s[20:21]                                   // 00000000C02C: BEFE0114
	global_atomic_add_f32 v6, v128, s[8:9]                     // 00000000C030: DD348000 00088006
	s_mov_b64 exec, s[36:37]                                   // 00000000C038: BEFE0124
	v_mov_b32_e32 v6, v87                                      // 00000000C03C: 7E0C0357
	s_mov_b64 s[60:61], 0                                      // 00000000C040: BEBC0180
	v_readlane_b32 s82, v3, 38                                 // 00000000C044: D2890052 00014D03
	s_and_b32 s82, s82, 0xffffff                               // 00000000C04C: 8652FF52 00FFFFFF
	s_cmp_lt_u32 s82, s66                                      // 00000000C054: BF0A4252
	s_cselect_b32 s20, s36, s60                                // 00000000C058: 85143C24
	v_readlane_b32 s82, v3, 39                                 // 00000000C05C: D2890052 00014F03
	s_and_b32 s82, s82, 0xffffff                               // 00000000C064: 8652FF52 00FFFFFF
	s_cmp_lt_u32 s82, s66                                      // 00000000C06C: BF0A4252
	s_cselect_b32 s21, s36, s60                                // 00000000C070: 85153C24
	s_mov_b64 exec, s[20:21]                                   // 00000000C074: BEFE0114
	global_atomic_add_f32 v6, v129, s[8:9]                     // 00000000C078: DD348000 00088106
	s_mov_b64 exec, s[36:37]                                   // 00000000C080: BEFE0124
	ds_write_b64 v20, v[94:95]                                 // 00000000C084: D89A0000 00005E14
	ds_write_b64 v20, v[98:99] offset:2176                     // 00000000C08C: D89A0880 00006214
	ds_write_b64 v20, v[102:103] offset:4352                   // 00000000C094: D89A1100 00006614
	ds_write_b64 v20, v[106:107] offset:6528                   // 00000000C09C: D89A1980 00006A14
	ds_write_b64 v20, v[110:111] offset:8704                   // 00000000C0A4: D89A2200 00006E14
	ds_write_b64 v20, v[114:115] offset:10880                  // 00000000C0AC: D89A2A80 00007214
	ds_write_b64 v20, v[118:119] offset:13056                  // 00000000C0B4: D89A3300 00007614
	ds_write_b64 v20, v[122:123] offset:15232                  // 00000000C0BC: D89A3B80 00007A14
	ds_write_b64 v20, v[126:127] offset:17408                  // 00000000C0C4: D89A4400 00007E14
	ds_write_b64 v20, v[130:131] offset:19584                  // 00000000C0CC: D89A4C80 00008214
	s_waitcnt lgkmcnt(0)                                       // 00000000C0D4: BF8CC07F
	s_barrier                                                  // 00000000C0D8: BF8A0000
	ds_read_b32 v94, v21                                       // 00000000C0DC: D86C0000 5E000015
	ds_read_b32 v95, v21 offset:64                             // 00000000C0E4: D86C0040 5F000015
	ds_read_b32 v98, v21 offset:2176                           // 00000000C0EC: D86C0880 62000015
	ds_read_b32 v99, v21 offset:2240                           // 00000000C0F4: D86C08C0 63000015
	ds_read_b32 v102, v21 offset:4352                          // 00000000C0FC: D86C1100 66000015
	ds_read_b32 v103, v21 offset:4416                          // 00000000C104: D86C1140 67000015
	ds_read_b32 v106, v21 offset:6528                          // 00000000C10C: D86C1980 6A000015
	ds_read_b32 v107, v21 offset:6592                          // 00000000C114: D86C19C0 6B000015
	ds_read_b32 v110, v21 offset:8704                          // 00000000C11C: D86C2200 6E000015
	ds_read_b32 v111, v21 offset:8768                          // 00000000C124: D86C2240 6F000015
	ds_read_b32 v114, v21 offset:10880                         // 00000000C12C: D86C2A80 72000015
	ds_read_b32 v115, v21 offset:10944                         // 00000000C134: D86C2AC0 73000015
	ds_read_b32 v118, v21 offset:13056                         // 00000000C13C: D86C3300 76000015
	ds_read_b32 v119, v21 offset:13120                         // 00000000C144: D86C3340 77000015
	ds_read_b32 v122, v21 offset:15232                         // 00000000C14C: D86C3B80 7A000015
	ds_read_b32 v123, v21 offset:15296                         // 00000000C154: D86C3BC0 7B000015
	ds_read_b32 v126, v21 offset:17408                         // 00000000C15C: D86C4400 7E000015
	ds_read_b32 v127, v21 offset:17472                         // 00000000C164: D86C4440 7F000015
	ds_read_b32 v130, v21 offset:19584                         // 00000000C16C: D86C4C80 82000015
	ds_read_b32 v131, v21 offset:19648                         // 00000000C174: D86C4CC0 83000015
	s_waitcnt lgkmcnt(0)                                       // 00000000C17C: BF8CC07F
	v_mov_b32_e32 v7, 0                                        // 00000000C180: 7E0E0280
	s_mov_b64 exec, s[36:37]                                   // 00000000C184: BEFE0124
	v_mov_b32_e32 v6, v68                                      // 00000000C188: 7E0C0344
	s_mov_b64 s[60:61], 0                                      // 00000000C18C: BEBC0180
	v_readlane_b32 s82, v3, 0                                  // 00000000C190: D2890052 00010103
	s_and_b32 s82, s82, 0xffffff                               // 00000000C198: 8652FF52 00FFFFFF
	s_cmp_lt_u32 s82, s66                                      // 00000000C1A0: BF0A4252
	s_cselect_b32 s20, s36, s60                                // 00000000C1A4: 85143C24
	v_readlane_b32 s82, v3, 1                                  // 00000000C1A8: D2890052 00010303
	s_and_b32 s82, s82, 0xffffff                               // 00000000C1B0: 8652FF52 00FFFFFF
	s_cmp_lt_u32 s82, s66                                      // 00000000C1B8: BF0A4252
	s_cselect_b32 s21, s36, s60                                // 00000000C1BC: 85153C24
	s_mov_b64 exec, s[20:21]                                   // 00000000C1C0: BEFE0114
	global_atomic_add_f32 v6, v94, s[8:9] offset:8             // 00000000C1C4: DD348008 00085E06
	s_mov_b64 exec, s[36:37]                                   // 00000000C1CC: BEFE0124
	v_mov_b32_e32 v6, v69                                      // 00000000C1D0: 7E0C0345
	s_mov_b64 s[60:61], 0                                      // 00000000C1D4: BEBC0180
	v_readlane_b32 s82, v3, 2                                  // 00000000C1D8: D2890052 00010503
	s_and_b32 s82, s82, 0xffffff                               // 00000000C1E0: 8652FF52 00FFFFFF
	s_cmp_lt_u32 s82, s66                                      // 00000000C1E8: BF0A4252
	s_cselect_b32 s20, s36, s60                                // 00000000C1EC: 85143C24
	v_readlane_b32 s82, v3, 3                                  // 00000000C1F0: D2890052 00010703
	s_and_b32 s82, s82, 0xffffff                               // 00000000C1F8: 8652FF52 00FFFFFF
	s_cmp_lt_u32 s82, s66                                      // 00000000C200: BF0A4252
	s_cselect_b32 s21, s36, s60                                // 00000000C204: 85153C24
	s_mov_b64 exec, s[20:21]                                   // 00000000C208: BEFE0114
	global_atomic_add_f32 v6, v95, s[8:9] offset:8             // 00000000C20C: DD348008 00085F06
	s_mov_b64 exec, s[36:37]                                   // 00000000C214: BEFE0124
	v_mov_b32_e32 v6, v70                                      // 00000000C218: 7E0C0346
	s_mov_b64 s[60:61], 0                                      // 00000000C21C: BEBC0180
	v_readlane_b32 s82, v3, 4                                  // 00000000C220: D2890052 00010903
	s_and_b32 s82, s82, 0xffffff                               // 00000000C228: 8652FF52 00FFFFFF
	s_cmp_lt_u32 s82, s66                                      // 00000000C230: BF0A4252
	s_cselect_b32 s20, s36, s60                                // 00000000C234: 85143C24
	v_readlane_b32 s82, v3, 5                                  // 00000000C238: D2890052 00010B03
	s_and_b32 s82, s82, 0xffffff                               // 00000000C240: 8652FF52 00FFFFFF
	s_cmp_lt_u32 s82, s66                                      // 00000000C248: BF0A4252
	s_cselect_b32 s21, s36, s60                                // 00000000C24C: 85153C24
	s_mov_b64 exec, s[20:21]                                   // 00000000C250: BEFE0114
	global_atomic_add_f32 v6, v98, s[8:9] offset:8             // 00000000C254: DD348008 00086206
	s_mov_b64 exec, s[36:37]                                   // 00000000C25C: BEFE0124
	v_mov_b32_e32 v6, v71                                      // 00000000C260: 7E0C0347
	s_mov_b64 s[60:61], 0                                      // 00000000C264: BEBC0180
	v_readlane_b32 s82, v3, 6                                  // 00000000C268: D2890052 00010D03
	s_and_b32 s82, s82, 0xffffff                               // 00000000C270: 8652FF52 00FFFFFF
	s_cmp_lt_u32 s82, s66                                      // 00000000C278: BF0A4252
	s_cselect_b32 s20, s36, s60                                // 00000000C27C: 85143C24
	v_readlane_b32 s82, v3, 7                                  // 00000000C280: D2890052 00010F03
	s_and_b32 s82, s82, 0xffffff                               // 00000000C288: 8652FF52 00FFFFFF
	s_cmp_lt_u32 s82, s66                                      // 00000000C290: BF0A4252
	s_cselect_b32 s21, s36, s60                                // 00000000C294: 85153C24
	s_mov_b64 exec, s[20:21]                                   // 00000000C298: BEFE0114
	global_atomic_add_f32 v6, v99, s[8:9] offset:8             // 00000000C29C: DD348008 00086306
	s_mov_b64 exec, s[36:37]                                   // 00000000C2A4: BEFE0124
	v_mov_b32_e32 v6, v72                                      // 00000000C2A8: 7E0C0348
	s_mov_b64 s[60:61], 0                                      // 00000000C2AC: BEBC0180
	v_readlane_b32 s82, v3, 8                                  // 00000000C2B0: D2890052 00011103
	s_and_b32 s82, s82, 0xffffff                               // 00000000C2B8: 8652FF52 00FFFFFF
	s_cmp_lt_u32 s82, s66                                      // 00000000C2C0: BF0A4252
	s_cselect_b32 s20, s36, s60                                // 00000000C2C4: 85143C24
	v_readlane_b32 s82, v3, 9                                  // 00000000C2C8: D2890052 00011303
	s_and_b32 s82, s82, 0xffffff                               // 00000000C2D0: 8652FF52 00FFFFFF
	s_cmp_lt_u32 s82, s66                                      // 00000000C2D8: BF0A4252
	s_cselect_b32 s21, s36, s60                                // 00000000C2DC: 85153C24
	s_mov_b64 exec, s[20:21]                                   // 00000000C2E0: BEFE0114
	global_atomic_add_f32 v6, v102, s[8:9] offset:8            // 00000000C2E4: DD348008 00086606
	s_mov_b64 exec, s[36:37]                                   // 00000000C2EC: BEFE0124
	v_mov_b32_e32 v6, v73                                      // 00000000C2F0: 7E0C0349
	s_mov_b64 s[60:61], 0                                      // 00000000C2F4: BEBC0180
	v_readlane_b32 s82, v3, 10                                 // 00000000C2F8: D2890052 00011503
	s_and_b32 s82, s82, 0xffffff                               // 00000000C300: 8652FF52 00FFFFFF
	s_cmp_lt_u32 s82, s66                                      // 00000000C308: BF0A4252
	s_cselect_b32 s20, s36, s60                                // 00000000C30C: 85143C24
	v_readlane_b32 s82, v3, 11                                 // 00000000C310: D2890052 00011703
	s_and_b32 s82, s82, 0xffffff                               // 00000000C318: 8652FF52 00FFFFFF
	s_cmp_lt_u32 s82, s66                                      // 00000000C320: BF0A4252
	s_cselect_b32 s21, s36, s60                                // 00000000C324: 85153C24
	s_mov_b64 exec, s[20:21]                                   // 00000000C328: BEFE0114
	global_atomic_add_f32 v6, v103, s[8:9] offset:8            // 00000000C32C: DD348008 00086706
	s_mov_b64 exec, s[36:37]                                   // 00000000C334: BEFE0124
	v_mov_b32_e32 v6, v74                                      // 00000000C338: 7E0C034A
	s_mov_b64 s[60:61], 0                                      // 00000000C33C: BEBC0180
	v_readlane_b32 s82, v3, 12                                 // 00000000C340: D2890052 00011903
	s_and_b32 s82, s82, 0xffffff                               // 00000000C348: 8652FF52 00FFFFFF
	s_cmp_lt_u32 s82, s66                                      // 00000000C350: BF0A4252
	s_cselect_b32 s20, s36, s60                                // 00000000C354: 85143C24
	v_readlane_b32 s82, v3, 13                                 // 00000000C358: D2890052 00011B03
	s_and_b32 s82, s82, 0xffffff                               // 00000000C360: 8652FF52 00FFFFFF
	s_cmp_lt_u32 s82, s66                                      // 00000000C368: BF0A4252
	s_cselect_b32 s21, s36, s60                                // 00000000C36C: 85153C24
	s_mov_b64 exec, s[20:21]                                   // 00000000C370: BEFE0114
	global_atomic_add_f32 v6, v106, s[8:9] offset:8            // 00000000C374: DD348008 00086A06
	s_mov_b64 exec, s[36:37]                                   // 00000000C37C: BEFE0124
	v_mov_b32_e32 v6, v75                                      // 00000000C380: 7E0C034B
	s_mov_b64 s[60:61], 0                                      // 00000000C384: BEBC0180
	v_readlane_b32 s82, v3, 14                                 // 00000000C388: D2890052 00011D03
	s_and_b32 s82, s82, 0xffffff                               // 00000000C390: 8652FF52 00FFFFFF
	s_cmp_lt_u32 s82, s66                                      // 00000000C398: BF0A4252
	s_cselect_b32 s20, s36, s60                                // 00000000C39C: 85143C24
	v_readlane_b32 s82, v3, 15                                 // 00000000C3A0: D2890052 00011F03
	s_and_b32 s82, s82, 0xffffff                               // 00000000C3A8: 8652FF52 00FFFFFF
	s_cmp_lt_u32 s82, s66                                      // 00000000C3B0: BF0A4252
	s_cselect_b32 s21, s36, s60                                // 00000000C3B4: 85153C24
	s_mov_b64 exec, s[20:21]                                   // 00000000C3B8: BEFE0114
	global_atomic_add_f32 v6, v107, s[8:9] offset:8            // 00000000C3BC: DD348008 00086B06
	s_mov_b64 exec, s[36:37]                                   // 00000000C3C4: BEFE0124
	v_mov_b32_e32 v6, v76                                      // 00000000C3C8: 7E0C034C
	s_mov_b64 s[60:61], 0                                      // 00000000C3CC: BEBC0180
	v_readlane_b32 s82, v3, 16                                 // 00000000C3D0: D2890052 00012103
	s_and_b32 s82, s82, 0xffffff                               // 00000000C3D8: 8652FF52 00FFFFFF
	s_cmp_lt_u32 s82, s66                                      // 00000000C3E0: BF0A4252
	s_cselect_b32 s20, s36, s60                                // 00000000C3E4: 85143C24
	v_readlane_b32 s82, v3, 17                                 // 00000000C3E8: D2890052 00012303
	s_and_b32 s82, s82, 0xffffff                               // 00000000C3F0: 8652FF52 00FFFFFF
	s_cmp_lt_u32 s82, s66                                      // 00000000C3F8: BF0A4252
	s_cselect_b32 s21, s36, s60                                // 00000000C3FC: 85153C24
	s_mov_b64 exec, s[20:21]                                   // 00000000C400: BEFE0114
	global_atomic_add_f32 v6, v110, s[8:9] offset:8            // 00000000C404: DD348008 00086E06
	s_mov_b64 exec, s[36:37]                                   // 00000000C40C: BEFE0124
	v_mov_b32_e32 v6, v77                                      // 00000000C410: 7E0C034D
	s_mov_b64 s[60:61], 0                                      // 00000000C414: BEBC0180
	v_readlane_b32 s82, v3, 18                                 // 00000000C418: D2890052 00012503
	s_and_b32 s82, s82, 0xffffff                               // 00000000C420: 8652FF52 00FFFFFF
	s_cmp_lt_u32 s82, s66                                      // 00000000C428: BF0A4252
	s_cselect_b32 s20, s36, s60                                // 00000000C42C: 85143C24
	v_readlane_b32 s82, v3, 19                                 // 00000000C430: D2890052 00012703
	s_and_b32 s82, s82, 0xffffff                               // 00000000C438: 8652FF52 00FFFFFF
	s_cmp_lt_u32 s82, s66                                      // 00000000C440: BF0A4252
	s_cselect_b32 s21, s36, s60                                // 00000000C444: 85153C24
	s_mov_b64 exec, s[20:21]                                   // 00000000C448: BEFE0114
	global_atomic_add_f32 v6, v111, s[8:9] offset:8            // 00000000C44C: DD348008 00086F06
	s_mov_b64 exec, s[36:37]                                   // 00000000C454: BEFE0124
	v_mov_b32_e32 v6, v78                                      // 00000000C458: 7E0C034E
	s_mov_b64 s[60:61], 0                                      // 00000000C45C: BEBC0180
	v_readlane_b32 s82, v3, 20                                 // 00000000C460: D2890052 00012903
	s_and_b32 s82, s82, 0xffffff                               // 00000000C468: 8652FF52 00FFFFFF
	s_cmp_lt_u32 s82, s66                                      // 00000000C470: BF0A4252
	s_cselect_b32 s20, s36, s60                                // 00000000C474: 85143C24
	v_readlane_b32 s82, v3, 21                                 // 00000000C478: D2890052 00012B03
	s_and_b32 s82, s82, 0xffffff                               // 00000000C480: 8652FF52 00FFFFFF
	s_cmp_lt_u32 s82, s66                                      // 00000000C488: BF0A4252
	s_cselect_b32 s21, s36, s60                                // 00000000C48C: 85153C24
	s_mov_b64 exec, s[20:21]                                   // 00000000C490: BEFE0114
	global_atomic_add_f32 v6, v114, s[8:9] offset:8            // 00000000C494: DD348008 00087206
	s_mov_b64 exec, s[36:37]                                   // 00000000C49C: BEFE0124
	v_mov_b32_e32 v6, v79                                      // 00000000C4A0: 7E0C034F
	s_mov_b64 s[60:61], 0                                      // 00000000C4A4: BEBC0180
	v_readlane_b32 s82, v3, 22                                 // 00000000C4A8: D2890052 00012D03
	s_and_b32 s82, s82, 0xffffff                               // 00000000C4B0: 8652FF52 00FFFFFF
	s_cmp_lt_u32 s82, s66                                      // 00000000C4B8: BF0A4252
	s_cselect_b32 s20, s36, s60                                // 00000000C4BC: 85143C24
	v_readlane_b32 s82, v3, 23                                 // 00000000C4C0: D2890052 00012F03
	s_and_b32 s82, s82, 0xffffff                               // 00000000C4C8: 8652FF52 00FFFFFF
	s_cmp_lt_u32 s82, s66                                      // 00000000C4D0: BF0A4252
	s_cselect_b32 s21, s36, s60                                // 00000000C4D4: 85153C24
	s_mov_b64 exec, s[20:21]                                   // 00000000C4D8: BEFE0114
	global_atomic_add_f32 v6, v115, s[8:9] offset:8            // 00000000C4DC: DD348008 00087306
	s_mov_b64 exec, s[36:37]                                   // 00000000C4E4: BEFE0124
	v_mov_b32_e32 v6, v80                                      // 00000000C4E8: 7E0C0350
	s_mov_b64 s[60:61], 0                                      // 00000000C4EC: BEBC0180
	v_readlane_b32 s82, v3, 24                                 // 00000000C4F0: D2890052 00013103
	s_and_b32 s82, s82, 0xffffff                               // 00000000C4F8: 8652FF52 00FFFFFF
	s_cmp_lt_u32 s82, s66                                      // 00000000C500: BF0A4252
	s_cselect_b32 s20, s36, s60                                // 00000000C504: 85143C24
	v_readlane_b32 s82, v3, 25                                 // 00000000C508: D2890052 00013303
	s_and_b32 s82, s82, 0xffffff                               // 00000000C510: 8652FF52 00FFFFFF
	s_cmp_lt_u32 s82, s66                                      // 00000000C518: BF0A4252
	s_cselect_b32 s21, s36, s60                                // 00000000C51C: 85153C24
	s_mov_b64 exec, s[20:21]                                   // 00000000C520: BEFE0114
	global_atomic_add_f32 v6, v118, s[8:9] offset:8            // 00000000C524: DD348008 00087606
	s_mov_b64 exec, s[36:37]                                   // 00000000C52C: BEFE0124
	v_mov_b32_e32 v6, v81                                      // 00000000C530: 7E0C0351
	s_mov_b64 s[60:61], 0                                      // 00000000C534: BEBC0180
	v_readlane_b32 s82, v3, 26                                 // 00000000C538: D2890052 00013503
	s_and_b32 s82, s82, 0xffffff                               // 00000000C540: 8652FF52 00FFFFFF
	s_cmp_lt_u32 s82, s66                                      // 00000000C548: BF0A4252
	s_cselect_b32 s20, s36, s60                                // 00000000C54C: 85143C24
	v_readlane_b32 s82, v3, 27                                 // 00000000C550: D2890052 00013703
	s_and_b32 s82, s82, 0xffffff                               // 00000000C558: 8652FF52 00FFFFFF
	s_cmp_lt_u32 s82, s66                                      // 00000000C560: BF0A4252
	s_cselect_b32 s21, s36, s60                                // 00000000C564: 85153C24
	s_mov_b64 exec, s[20:21]                                   // 00000000C568: BEFE0114
	global_atomic_add_f32 v6, v119, s[8:9] offset:8            // 00000000C56C: DD348008 00087706
	s_mov_b64 exec, s[36:37]                                   // 00000000C574: BEFE0124
	v_mov_b32_e32 v6, v82                                      // 00000000C578: 7E0C0352
	s_mov_b64 s[60:61], 0                                      // 00000000C57C: BEBC0180
	v_readlane_b32 s82, v3, 28                                 // 00000000C580: D2890052 00013903
	s_and_b32 s82, s82, 0xffffff                               // 00000000C588: 8652FF52 00FFFFFF
	s_cmp_lt_u32 s82, s66                                      // 00000000C590: BF0A4252
	s_cselect_b32 s20, s36, s60                                // 00000000C594: 85143C24
	v_readlane_b32 s82, v3, 29                                 // 00000000C598: D2890052 00013B03
	s_and_b32 s82, s82, 0xffffff                               // 00000000C5A0: 8652FF52 00FFFFFF
	s_cmp_lt_u32 s82, s66                                      // 00000000C5A8: BF0A4252
	s_cselect_b32 s21, s36, s60                                // 00000000C5AC: 85153C24
	s_mov_b64 exec, s[20:21]                                   // 00000000C5B0: BEFE0114
	global_atomic_add_f32 v6, v122, s[8:9] offset:8            // 00000000C5B4: DD348008 00087A06
	s_mov_b64 exec, s[36:37]                                   // 00000000C5BC: BEFE0124
	v_mov_b32_e32 v6, v83                                      // 00000000C5C0: 7E0C0353
	s_mov_b64 s[60:61], 0                                      // 00000000C5C4: BEBC0180
	v_readlane_b32 s82, v3, 30                                 // 00000000C5C8: D2890052 00013D03
	s_and_b32 s82, s82, 0xffffff                               // 00000000C5D0: 8652FF52 00FFFFFF
	s_cmp_lt_u32 s82, s66                                      // 00000000C5D8: BF0A4252
	s_cselect_b32 s20, s36, s60                                // 00000000C5DC: 85143C24
	v_readlane_b32 s82, v3, 31                                 // 00000000C5E0: D2890052 00013F03
	s_and_b32 s82, s82, 0xffffff                               // 00000000C5E8: 8652FF52 00FFFFFF
	s_cmp_lt_u32 s82, s66                                      // 00000000C5F0: BF0A4252
	s_cselect_b32 s21, s36, s60                                // 00000000C5F4: 85153C24
	s_mov_b64 exec, s[20:21]                                   // 00000000C5F8: BEFE0114
	global_atomic_add_f32 v6, v123, s[8:9] offset:8            // 00000000C5FC: DD348008 00087B06
	s_mov_b64 exec, s[36:37]                                   // 00000000C604: BEFE0124
	v_mov_b32_e32 v6, v84                                      // 00000000C608: 7E0C0354
	s_mov_b64 s[60:61], 0                                      // 00000000C60C: BEBC0180
	v_readlane_b32 s82, v3, 32                                 // 00000000C610: D2890052 00014103
	s_and_b32 s82, s82, 0xffffff                               // 00000000C618: 8652FF52 00FFFFFF
	s_cmp_lt_u32 s82, s66                                      // 00000000C620: BF0A4252
	s_cselect_b32 s20, s36, s60                                // 00000000C624: 85143C24
	v_readlane_b32 s82, v3, 33                                 // 00000000C628: D2890052 00014303
	s_and_b32 s82, s82, 0xffffff                               // 00000000C630: 8652FF52 00FFFFFF
	s_cmp_lt_u32 s82, s66                                      // 00000000C638: BF0A4252
	s_cselect_b32 s21, s36, s60                                // 00000000C63C: 85153C24
	s_mov_b64 exec, s[20:21]                                   // 00000000C640: BEFE0114
	global_atomic_add_f32 v6, v126, s[8:9] offset:8            // 00000000C644: DD348008 00087E06
	s_mov_b64 exec, s[36:37]                                   // 00000000C64C: BEFE0124
	v_mov_b32_e32 v6, v85                                      // 00000000C650: 7E0C0355
	s_mov_b64 s[60:61], 0                                      // 00000000C654: BEBC0180
	v_readlane_b32 s82, v3, 34                                 // 00000000C658: D2890052 00014503
	s_and_b32 s82, s82, 0xffffff                               // 00000000C660: 8652FF52 00FFFFFF
	s_cmp_lt_u32 s82, s66                                      // 00000000C668: BF0A4252
	s_cselect_b32 s20, s36, s60                                // 00000000C66C: 85143C24
	v_readlane_b32 s82, v3, 35                                 // 00000000C670: D2890052 00014703
	s_and_b32 s82, s82, 0xffffff                               // 00000000C678: 8652FF52 00FFFFFF
	s_cmp_lt_u32 s82, s66                                      // 00000000C680: BF0A4252
	s_cselect_b32 s21, s36, s60                                // 00000000C684: 85153C24
	s_mov_b64 exec, s[20:21]                                   // 00000000C688: BEFE0114
	global_atomic_add_f32 v6, v127, s[8:9] offset:8            // 00000000C68C: DD348008 00087F06
	s_mov_b64 exec, s[36:37]                                   // 00000000C694: BEFE0124
	v_mov_b32_e32 v6, v86                                      // 00000000C698: 7E0C0356
	s_mov_b64 s[60:61], 0                                      // 00000000C69C: BEBC0180
	v_readlane_b32 s82, v3, 36                                 // 00000000C6A0: D2890052 00014903
	s_and_b32 s82, s82, 0xffffff                               // 00000000C6A8: 8652FF52 00FFFFFF
	s_cmp_lt_u32 s82, s66                                      // 00000000C6B0: BF0A4252
	s_cselect_b32 s20, s36, s60                                // 00000000C6B4: 85143C24
	v_readlane_b32 s82, v3, 37                                 // 00000000C6B8: D2890052 00014B03
	s_and_b32 s82, s82, 0xffffff                               // 00000000C6C0: 8652FF52 00FFFFFF
	s_cmp_lt_u32 s82, s66                                      // 00000000C6C8: BF0A4252
	s_cselect_b32 s21, s36, s60                                // 00000000C6CC: 85153C24
	s_mov_b64 exec, s[20:21]                                   // 00000000C6D0: BEFE0114
	global_atomic_add_f32 v6, v130, s[8:9] offset:8            // 00000000C6D4: DD348008 00088206
	s_mov_b64 exec, s[36:37]                                   // 00000000C6DC: BEFE0124
	v_mov_b32_e32 v6, v87                                      // 00000000C6E0: 7E0C0357
	s_mov_b64 s[60:61], 0                                      // 00000000C6E4: BEBC0180
	v_readlane_b32 s82, v3, 38                                 // 00000000C6E8: D2890052 00014D03
	s_and_b32 s82, s82, 0xffffff                               // 00000000C6F0: 8652FF52 00FFFFFF
	s_cmp_lt_u32 s82, s66                                      // 00000000C6F8: BF0A4252
	s_cselect_b32 s20, s36, s60                                // 00000000C6FC: 85143C24
	v_readlane_b32 s82, v3, 39                                 // 00000000C700: D2890052 00014F03
	s_and_b32 s82, s82, 0xffffff                               // 00000000C708: 8652FF52 00FFFFFF
	s_cmp_lt_u32 s82, s66                                      // 00000000C710: BF0A4252
	s_cselect_b32 s21, s36, s60                                // 00000000C714: 85153C24
	s_mov_b64 exec, s[20:21]                                   // 00000000C718: BEFE0114
	global_atomic_add_f32 v6, v131, s[8:9] offset:8            // 00000000C71C: DD348008 00088306
	s_mov_b64 exec, s[36:37]                                   // 00000000C724: BEFE0124
	ds_write_b64 v20, v[132:133]                               // 00000000C728: D89A0000 00008414
	ds_write_b64 v20, v[136:137] offset:2176                   // 00000000C730: D89A0880 00008814
	ds_write_b64 v20, v[140:141] offset:4352                   // 00000000C738: D89A1100 00008C14
	ds_write_b64 v20, v[144:145] offset:6528                   // 00000000C740: D89A1980 00009014
	ds_write_b64 v20, v[148:149] offset:8704                   // 00000000C748: D89A2200 00009414
	ds_write_b64 v20, v[152:153] offset:10880                  // 00000000C750: D89A2A80 00009814
	ds_write_b64 v20, v[156:157] offset:13056                  // 00000000C758: D89A3300 00009C14
	ds_write_b64 v20, v[160:161] offset:15232                  // 00000000C760: D89A3B80 0000A014
	ds_write_b64 v20, v[164:165] offset:17408                  // 00000000C768: D89A4400 0000A414
	ds_write_b64 v20, v[168:169] offset:19584                  // 00000000C770: D89A4C80 0000A814
	s_waitcnt lgkmcnt(0)                                       // 00000000C778: BF8CC07F
	s_barrier                                                  // 00000000C77C: BF8A0000
	ds_read_b32 v132, v21                                      // 00000000C780: D86C0000 84000015
	ds_read_b32 v133, v21 offset:64                            // 00000000C788: D86C0040 85000015
	ds_read_b32 v136, v21 offset:2176                          // 00000000C790: D86C0880 88000015
	ds_read_b32 v137, v21 offset:2240                          // 00000000C798: D86C08C0 89000015
	ds_read_b32 v140, v21 offset:4352                          // 00000000C7A0: D86C1100 8C000015
	ds_read_b32 v141, v21 offset:4416                          // 00000000C7A8: D86C1140 8D000015
	ds_read_b32 v144, v21 offset:6528                          // 00000000C7B0: D86C1980 90000015
	ds_read_b32 v145, v21 offset:6592                          // 00000000C7B8: D86C19C0 91000015
	ds_read_b32 v148, v21 offset:8704                          // 00000000C7C0: D86C2200 94000015
	ds_read_b32 v149, v21 offset:8768                          // 00000000C7C8: D86C2240 95000015
	ds_read_b32 v152, v21 offset:10880                         // 00000000C7D0: D86C2A80 98000015
	ds_read_b32 v153, v21 offset:10944                         // 00000000C7D8: D86C2AC0 99000015
	ds_read_b32 v156, v21 offset:13056                         // 00000000C7E0: D86C3300 9C000015
	ds_read_b32 v157, v21 offset:13120                         // 00000000C7E8: D86C3340 9D000015
	ds_read_b32 v160, v21 offset:15232                         // 00000000C7F0: D86C3B80 A0000015
	ds_read_b32 v161, v21 offset:15296                         // 00000000C7F8: D86C3BC0 A1000015
	ds_read_b32 v164, v21 offset:17408                         // 00000000C800: D86C4400 A4000015
	ds_read_b32 v165, v21 offset:17472                         // 00000000C808: D86C4440 A5000015
	ds_read_b32 v168, v21 offset:19584                         // 00000000C810: D86C4C80 A8000015
	ds_read_b32 v169, v21 offset:19648                         // 00000000C818: D86C4CC0 A9000015
	s_mul_i32 s60, s65, 4                                      // 00000000C820: 923C8441
	s_add_u32 s8, s60, s8                                      // 00000000C824: 8008083C
	s_addc_u32 s9, 0, s9                                       // 00000000C828: 82090980
	s_waitcnt lgkmcnt(0)                                       // 00000000C82C: BF8CC07F
	v_mov_b32_e32 v7, 0                                        // 00000000C830: 7E0E0280
	s_mov_b64 exec, s[36:37]                                   // 00000000C834: BEFE0124
	v_mov_b32_e32 v6, v68                                      // 00000000C838: 7E0C0344
	s_mov_b64 s[60:61], 0                                      // 00000000C83C: BEBC0180
	v_readlane_b32 s82, v3, 0                                  // 00000000C840: D2890052 00010103
	s_and_b32 s82, s82, 0xffffff                               // 00000000C848: 8652FF52 00FFFFFF
	s_cmp_lt_u32 s82, s66                                      // 00000000C850: BF0A4252
	s_cselect_b32 s20, s36, s60                                // 00000000C854: 85143C24
	v_readlane_b32 s82, v3, 1                                  // 00000000C858: D2890052 00010303
	s_and_b32 s82, s82, 0xffffff                               // 00000000C860: 8652FF52 00FFFFFF
	s_cmp_lt_u32 s82, s66                                      // 00000000C868: BF0A4252
	s_cselect_b32 s21, s36, s60                                // 00000000C86C: 85153C24
	s_mov_b64 exec, s[20:21]                                   // 00000000C870: BEFE0114
	global_atomic_add_f32 v6, v132, s[8:9]                     // 00000000C874: DD348000 00088406
	s_mov_b64 exec, s[36:37]                                   // 00000000C87C: BEFE0124
	v_mov_b32_e32 v6, v69                                      // 00000000C880: 7E0C0345
	s_mov_b64 s[60:61], 0                                      // 00000000C884: BEBC0180
	v_readlane_b32 s82, v3, 2                                  // 00000000C888: D2890052 00010503
	s_and_b32 s82, s82, 0xffffff                               // 00000000C890: 8652FF52 00FFFFFF
	s_cmp_lt_u32 s82, s66                                      // 00000000C898: BF0A4252
	s_cselect_b32 s20, s36, s60                                // 00000000C89C: 85143C24
	v_readlane_b32 s82, v3, 3                                  // 00000000C8A0: D2890052 00010703
	s_and_b32 s82, s82, 0xffffff                               // 00000000C8A8: 8652FF52 00FFFFFF
	s_cmp_lt_u32 s82, s66                                      // 00000000C8B0: BF0A4252
	s_cselect_b32 s21, s36, s60                                // 00000000C8B4: 85153C24
	s_mov_b64 exec, s[20:21]                                   // 00000000C8B8: BEFE0114
	global_atomic_add_f32 v6, v133, s[8:9]                     // 00000000C8BC: DD348000 00088506
	s_mov_b64 exec, s[36:37]                                   // 00000000C8C4: BEFE0124
	v_mov_b32_e32 v6, v70                                      // 00000000C8C8: 7E0C0346
	s_mov_b64 s[60:61], 0                                      // 00000000C8CC: BEBC0180
	v_readlane_b32 s82, v3, 4                                  // 00000000C8D0: D2890052 00010903
	s_and_b32 s82, s82, 0xffffff                               // 00000000C8D8: 8652FF52 00FFFFFF
	s_cmp_lt_u32 s82, s66                                      // 00000000C8E0: BF0A4252
	s_cselect_b32 s20, s36, s60                                // 00000000C8E4: 85143C24
	v_readlane_b32 s82, v3, 5                                  // 00000000C8E8: D2890052 00010B03
	s_and_b32 s82, s82, 0xffffff                               // 00000000C8F0: 8652FF52 00FFFFFF
	s_cmp_lt_u32 s82, s66                                      // 00000000C8F8: BF0A4252
	s_cselect_b32 s21, s36, s60                                // 00000000C8FC: 85153C24
	s_mov_b64 exec, s[20:21]                                   // 00000000C900: BEFE0114
	global_atomic_add_f32 v6, v136, s[8:9]                     // 00000000C904: DD348000 00088806
	s_mov_b64 exec, s[36:37]                                   // 00000000C90C: BEFE0124
	v_mov_b32_e32 v6, v71                                      // 00000000C910: 7E0C0347
	s_mov_b64 s[60:61], 0                                      // 00000000C914: BEBC0180
	v_readlane_b32 s82, v3, 6                                  // 00000000C918: D2890052 00010D03
	s_and_b32 s82, s82, 0xffffff                               // 00000000C920: 8652FF52 00FFFFFF
	s_cmp_lt_u32 s82, s66                                      // 00000000C928: BF0A4252
	s_cselect_b32 s20, s36, s60                                // 00000000C92C: 85143C24
	v_readlane_b32 s82, v3, 7                                  // 00000000C930: D2890052 00010F03
	s_and_b32 s82, s82, 0xffffff                               // 00000000C938: 8652FF52 00FFFFFF
	s_cmp_lt_u32 s82, s66                                      // 00000000C940: BF0A4252
	s_cselect_b32 s21, s36, s60                                // 00000000C944: 85153C24
	s_mov_b64 exec, s[20:21]                                   // 00000000C948: BEFE0114
	global_atomic_add_f32 v6, v137, s[8:9]                     // 00000000C94C: DD348000 00088906
	s_mov_b64 exec, s[36:37]                                   // 00000000C954: BEFE0124
	v_mov_b32_e32 v6, v72                                      // 00000000C958: 7E0C0348
	s_mov_b64 s[60:61], 0                                      // 00000000C95C: BEBC0180
	v_readlane_b32 s82, v3, 8                                  // 00000000C960: D2890052 00011103
	s_and_b32 s82, s82, 0xffffff                               // 00000000C968: 8652FF52 00FFFFFF
	s_cmp_lt_u32 s82, s66                                      // 00000000C970: BF0A4252
	s_cselect_b32 s20, s36, s60                                // 00000000C974: 85143C24
	v_readlane_b32 s82, v3, 9                                  // 00000000C978: D2890052 00011303
	s_and_b32 s82, s82, 0xffffff                               // 00000000C980: 8652FF52 00FFFFFF
	s_cmp_lt_u32 s82, s66                                      // 00000000C988: BF0A4252
	s_cselect_b32 s21, s36, s60                                // 00000000C98C: 85153C24
	s_mov_b64 exec, s[20:21]                                   // 00000000C990: BEFE0114
	global_atomic_add_f32 v6, v140, s[8:9]                     // 00000000C994: DD348000 00088C06
	s_mov_b64 exec, s[36:37]                                   // 00000000C99C: BEFE0124
	v_mov_b32_e32 v6, v73                                      // 00000000C9A0: 7E0C0349
	s_mov_b64 s[60:61], 0                                      // 00000000C9A4: BEBC0180
	v_readlane_b32 s82, v3, 10                                 // 00000000C9A8: D2890052 00011503
	s_and_b32 s82, s82, 0xffffff                               // 00000000C9B0: 8652FF52 00FFFFFF
	s_cmp_lt_u32 s82, s66                                      // 00000000C9B8: BF0A4252
	s_cselect_b32 s20, s36, s60                                // 00000000C9BC: 85143C24
	v_readlane_b32 s82, v3, 11                                 // 00000000C9C0: D2890052 00011703
	s_and_b32 s82, s82, 0xffffff                               // 00000000C9C8: 8652FF52 00FFFFFF
	s_cmp_lt_u32 s82, s66                                      // 00000000C9D0: BF0A4252
	s_cselect_b32 s21, s36, s60                                // 00000000C9D4: 85153C24
	s_mov_b64 exec, s[20:21]                                   // 00000000C9D8: BEFE0114
	global_atomic_add_f32 v6, v141, s[8:9]                     // 00000000C9DC: DD348000 00088D06
	s_mov_b64 exec, s[36:37]                                   // 00000000C9E4: BEFE0124
	v_mov_b32_e32 v6, v74                                      // 00000000C9E8: 7E0C034A
	s_mov_b64 s[60:61], 0                                      // 00000000C9EC: BEBC0180
	v_readlane_b32 s82, v3, 12                                 // 00000000C9F0: D2890052 00011903
	s_and_b32 s82, s82, 0xffffff                               // 00000000C9F8: 8652FF52 00FFFFFF
	s_cmp_lt_u32 s82, s66                                      // 00000000CA00: BF0A4252
	s_cselect_b32 s20, s36, s60                                // 00000000CA04: 85143C24
	v_readlane_b32 s82, v3, 13                                 // 00000000CA08: D2890052 00011B03
	s_and_b32 s82, s82, 0xffffff                               // 00000000CA10: 8652FF52 00FFFFFF
	s_cmp_lt_u32 s82, s66                                      // 00000000CA18: BF0A4252
	s_cselect_b32 s21, s36, s60                                // 00000000CA1C: 85153C24
	s_mov_b64 exec, s[20:21]                                   // 00000000CA20: BEFE0114
	global_atomic_add_f32 v6, v144, s[8:9]                     // 00000000CA24: DD348000 00089006
	s_mov_b64 exec, s[36:37]                                   // 00000000CA2C: BEFE0124
	v_mov_b32_e32 v6, v75                                      // 00000000CA30: 7E0C034B
	s_mov_b64 s[60:61], 0                                      // 00000000CA34: BEBC0180
	v_readlane_b32 s82, v3, 14                                 // 00000000CA38: D2890052 00011D03
	s_and_b32 s82, s82, 0xffffff                               // 00000000CA40: 8652FF52 00FFFFFF
	s_cmp_lt_u32 s82, s66                                      // 00000000CA48: BF0A4252
	s_cselect_b32 s20, s36, s60                                // 00000000CA4C: 85143C24
	v_readlane_b32 s82, v3, 15                                 // 00000000CA50: D2890052 00011F03
	s_and_b32 s82, s82, 0xffffff                               // 00000000CA58: 8652FF52 00FFFFFF
	s_cmp_lt_u32 s82, s66                                      // 00000000CA60: BF0A4252
	s_cselect_b32 s21, s36, s60                                // 00000000CA64: 85153C24
	s_mov_b64 exec, s[20:21]                                   // 00000000CA68: BEFE0114
	global_atomic_add_f32 v6, v145, s[8:9]                     // 00000000CA6C: DD348000 00089106
	s_mov_b64 exec, s[36:37]                                   // 00000000CA74: BEFE0124
	v_mov_b32_e32 v6, v76                                      // 00000000CA78: 7E0C034C
	s_mov_b64 s[60:61], 0                                      // 00000000CA7C: BEBC0180
	v_readlane_b32 s82, v3, 16                                 // 00000000CA80: D2890052 00012103
	s_and_b32 s82, s82, 0xffffff                               // 00000000CA88: 8652FF52 00FFFFFF
	s_cmp_lt_u32 s82, s66                                      // 00000000CA90: BF0A4252
	s_cselect_b32 s20, s36, s60                                // 00000000CA94: 85143C24
	v_readlane_b32 s82, v3, 17                                 // 00000000CA98: D2890052 00012303
	s_and_b32 s82, s82, 0xffffff                               // 00000000CAA0: 8652FF52 00FFFFFF
	s_cmp_lt_u32 s82, s66                                      // 00000000CAA8: BF0A4252
	s_cselect_b32 s21, s36, s60                                // 00000000CAAC: 85153C24
	s_mov_b64 exec, s[20:21]                                   // 00000000CAB0: BEFE0114
	global_atomic_add_f32 v6, v148, s[8:9]                     // 00000000CAB4: DD348000 00089406
	s_mov_b64 exec, s[36:37]                                   // 00000000CABC: BEFE0124
	v_mov_b32_e32 v6, v77                                      // 00000000CAC0: 7E0C034D
	s_mov_b64 s[60:61], 0                                      // 00000000CAC4: BEBC0180
	v_readlane_b32 s82, v3, 18                                 // 00000000CAC8: D2890052 00012503
	s_and_b32 s82, s82, 0xffffff                               // 00000000CAD0: 8652FF52 00FFFFFF
	s_cmp_lt_u32 s82, s66                                      // 00000000CAD8: BF0A4252
	s_cselect_b32 s20, s36, s60                                // 00000000CADC: 85143C24
	v_readlane_b32 s82, v3, 19                                 // 00000000CAE0: D2890052 00012703
	s_and_b32 s82, s82, 0xffffff                               // 00000000CAE8: 8652FF52 00FFFFFF
	s_cmp_lt_u32 s82, s66                                      // 00000000CAF0: BF0A4252
	s_cselect_b32 s21, s36, s60                                // 00000000CAF4: 85153C24
	s_mov_b64 exec, s[20:21]                                   // 00000000CAF8: BEFE0114
	global_atomic_add_f32 v6, v149, s[8:9]                     // 00000000CAFC: DD348000 00089506
	s_mov_b64 exec, s[36:37]                                   // 00000000CB04: BEFE0124
	v_mov_b32_e32 v6, v78                                      // 00000000CB08: 7E0C034E
	s_mov_b64 s[60:61], 0                                      // 00000000CB0C: BEBC0180
	v_readlane_b32 s82, v3, 20                                 // 00000000CB10: D2890052 00012903
	s_and_b32 s82, s82, 0xffffff                               // 00000000CB18: 8652FF52 00FFFFFF
	s_cmp_lt_u32 s82, s66                                      // 00000000CB20: BF0A4252
	s_cselect_b32 s20, s36, s60                                // 00000000CB24: 85143C24
	v_readlane_b32 s82, v3, 21                                 // 00000000CB28: D2890052 00012B03
	s_and_b32 s82, s82, 0xffffff                               // 00000000CB30: 8652FF52 00FFFFFF
	s_cmp_lt_u32 s82, s66                                      // 00000000CB38: BF0A4252
	s_cselect_b32 s21, s36, s60                                // 00000000CB3C: 85153C24
	s_mov_b64 exec, s[20:21]                                   // 00000000CB40: BEFE0114
	global_atomic_add_f32 v6, v152, s[8:9]                     // 00000000CB44: DD348000 00089806
	s_mov_b64 exec, s[36:37]                                   // 00000000CB4C: BEFE0124
	v_mov_b32_e32 v6, v79                                      // 00000000CB50: 7E0C034F
	s_mov_b64 s[60:61], 0                                      // 00000000CB54: BEBC0180
	v_readlane_b32 s82, v3, 22                                 // 00000000CB58: D2890052 00012D03
	s_and_b32 s82, s82, 0xffffff                               // 00000000CB60: 8652FF52 00FFFFFF
	s_cmp_lt_u32 s82, s66                                      // 00000000CB68: BF0A4252
	s_cselect_b32 s20, s36, s60                                // 00000000CB6C: 85143C24
	v_readlane_b32 s82, v3, 23                                 // 00000000CB70: D2890052 00012F03
	s_and_b32 s82, s82, 0xffffff                               // 00000000CB78: 8652FF52 00FFFFFF
	s_cmp_lt_u32 s82, s66                                      // 00000000CB80: BF0A4252
	s_cselect_b32 s21, s36, s60                                // 00000000CB84: 85153C24
	s_mov_b64 exec, s[20:21]                                   // 00000000CB88: BEFE0114
	global_atomic_add_f32 v6, v153, s[8:9]                     // 00000000CB8C: DD348000 00089906
	s_mov_b64 exec, s[36:37]                                   // 00000000CB94: BEFE0124
	v_mov_b32_e32 v6, v80                                      // 00000000CB98: 7E0C0350
	s_mov_b64 s[60:61], 0                                      // 00000000CB9C: BEBC0180
	v_readlane_b32 s82, v3, 24                                 // 00000000CBA0: D2890052 00013103
	s_and_b32 s82, s82, 0xffffff                               // 00000000CBA8: 8652FF52 00FFFFFF
	s_cmp_lt_u32 s82, s66                                      // 00000000CBB0: BF0A4252
	s_cselect_b32 s20, s36, s60                                // 00000000CBB4: 85143C24
	v_readlane_b32 s82, v3, 25                                 // 00000000CBB8: D2890052 00013303
	s_and_b32 s82, s82, 0xffffff                               // 00000000CBC0: 8652FF52 00FFFFFF
	s_cmp_lt_u32 s82, s66                                      // 00000000CBC8: BF0A4252
	s_cselect_b32 s21, s36, s60                                // 00000000CBCC: 85153C24
	s_mov_b64 exec, s[20:21]                                   // 00000000CBD0: BEFE0114
	global_atomic_add_f32 v6, v156, s[8:9]                     // 00000000CBD4: DD348000 00089C06
	s_mov_b64 exec, s[36:37]                                   // 00000000CBDC: BEFE0124
	v_mov_b32_e32 v6, v81                                      // 00000000CBE0: 7E0C0351
	s_mov_b64 s[60:61], 0                                      // 00000000CBE4: BEBC0180
	v_readlane_b32 s82, v3, 26                                 // 00000000CBE8: D2890052 00013503
	s_and_b32 s82, s82, 0xffffff                               // 00000000CBF0: 8652FF52 00FFFFFF
	s_cmp_lt_u32 s82, s66                                      // 00000000CBF8: BF0A4252
	s_cselect_b32 s20, s36, s60                                // 00000000CBFC: 85143C24
	v_readlane_b32 s82, v3, 27                                 // 00000000CC00: D2890052 00013703
	s_and_b32 s82, s82, 0xffffff                               // 00000000CC08: 8652FF52 00FFFFFF
	s_cmp_lt_u32 s82, s66                                      // 00000000CC10: BF0A4252
	s_cselect_b32 s21, s36, s60                                // 00000000CC14: 85153C24
	s_mov_b64 exec, s[20:21]                                   // 00000000CC18: BEFE0114
	global_atomic_add_f32 v6, v157, s[8:9]                     // 00000000CC1C: DD348000 00089D06
	s_mov_b64 exec, s[36:37]                                   // 00000000CC24: BEFE0124
	v_mov_b32_e32 v6, v82                                      // 00000000CC28: 7E0C0352
	s_mov_b64 s[60:61], 0                                      // 00000000CC2C: BEBC0180
	v_readlane_b32 s82, v3, 28                                 // 00000000CC30: D2890052 00013903
	s_and_b32 s82, s82, 0xffffff                               // 00000000CC38: 8652FF52 00FFFFFF
	s_cmp_lt_u32 s82, s66                                      // 00000000CC40: BF0A4252
	s_cselect_b32 s20, s36, s60                                // 00000000CC44: 85143C24
	v_readlane_b32 s82, v3, 29                                 // 00000000CC48: D2890052 00013B03
	s_and_b32 s82, s82, 0xffffff                               // 00000000CC50: 8652FF52 00FFFFFF
	s_cmp_lt_u32 s82, s66                                      // 00000000CC58: BF0A4252
	s_cselect_b32 s21, s36, s60                                // 00000000CC5C: 85153C24
	s_mov_b64 exec, s[20:21]                                   // 00000000CC60: BEFE0114
	global_atomic_add_f32 v6, v160, s[8:9]                     // 00000000CC64: DD348000 0008A006
	s_mov_b64 exec, s[36:37]                                   // 00000000CC6C: BEFE0124
	v_mov_b32_e32 v6, v83                                      // 00000000CC70: 7E0C0353
	s_mov_b64 s[60:61], 0                                      // 00000000CC74: BEBC0180
	v_readlane_b32 s82, v3, 30                                 // 00000000CC78: D2890052 00013D03
	s_and_b32 s82, s82, 0xffffff                               // 00000000CC80: 8652FF52 00FFFFFF
	s_cmp_lt_u32 s82, s66                                      // 00000000CC88: BF0A4252
	s_cselect_b32 s20, s36, s60                                // 00000000CC8C: 85143C24
	v_readlane_b32 s82, v3, 31                                 // 00000000CC90: D2890052 00013F03
	s_and_b32 s82, s82, 0xffffff                               // 00000000CC98: 8652FF52 00FFFFFF
	s_cmp_lt_u32 s82, s66                                      // 00000000CCA0: BF0A4252
	s_cselect_b32 s21, s36, s60                                // 00000000CCA4: 85153C24
	s_mov_b64 exec, s[20:21]                                   // 00000000CCA8: BEFE0114
	global_atomic_add_f32 v6, v161, s[8:9]                     // 00000000CCAC: DD348000 0008A106
	s_mov_b64 exec, s[36:37]                                   // 00000000CCB4: BEFE0124
	v_mov_b32_e32 v6, v84                                      // 00000000CCB8: 7E0C0354
	s_mov_b64 s[60:61], 0                                      // 00000000CCBC: BEBC0180
	v_readlane_b32 s82, v3, 32                                 // 00000000CCC0: D2890052 00014103
	s_and_b32 s82, s82, 0xffffff                               // 00000000CCC8: 8652FF52 00FFFFFF
	s_cmp_lt_u32 s82, s66                                      // 00000000CCD0: BF0A4252
	s_cselect_b32 s20, s36, s60                                // 00000000CCD4: 85143C24
	v_readlane_b32 s82, v3, 33                                 // 00000000CCD8: D2890052 00014303
	s_and_b32 s82, s82, 0xffffff                               // 00000000CCE0: 8652FF52 00FFFFFF
	s_cmp_lt_u32 s82, s66                                      // 00000000CCE8: BF0A4252
	s_cselect_b32 s21, s36, s60                                // 00000000CCEC: 85153C24
	s_mov_b64 exec, s[20:21]                                   // 00000000CCF0: BEFE0114
	global_atomic_add_f32 v6, v164, s[8:9]                     // 00000000CCF4: DD348000 0008A406
	s_mov_b64 exec, s[36:37]                                   // 00000000CCFC: BEFE0124
	v_mov_b32_e32 v6, v85                                      // 00000000CD00: 7E0C0355
	s_mov_b64 s[60:61], 0                                      // 00000000CD04: BEBC0180
	v_readlane_b32 s82, v3, 34                                 // 00000000CD08: D2890052 00014503
	s_and_b32 s82, s82, 0xffffff                               // 00000000CD10: 8652FF52 00FFFFFF
	s_cmp_lt_u32 s82, s66                                      // 00000000CD18: BF0A4252
	s_cselect_b32 s20, s36, s60                                // 00000000CD1C: 85143C24
	v_readlane_b32 s82, v3, 35                                 // 00000000CD20: D2890052 00014703
	s_and_b32 s82, s82, 0xffffff                               // 00000000CD28: 8652FF52 00FFFFFF
	s_cmp_lt_u32 s82, s66                                      // 00000000CD30: BF0A4252
	s_cselect_b32 s21, s36, s60                                // 00000000CD34: 85153C24
	s_mov_b64 exec, s[20:21]                                   // 00000000CD38: BEFE0114
	global_atomic_add_f32 v6, v165, s[8:9]                     // 00000000CD3C: DD348000 0008A506
	s_mov_b64 exec, s[36:37]                                   // 00000000CD44: BEFE0124
	v_mov_b32_e32 v6, v86                                      // 00000000CD48: 7E0C0356
	s_mov_b64 s[60:61], 0                                      // 00000000CD4C: BEBC0180
	v_readlane_b32 s82, v3, 36                                 // 00000000CD50: D2890052 00014903
	s_and_b32 s82, s82, 0xffffff                               // 00000000CD58: 8652FF52 00FFFFFF
	s_cmp_lt_u32 s82, s66                                      // 00000000CD60: BF0A4252
	s_cselect_b32 s20, s36, s60                                // 00000000CD64: 85143C24
	v_readlane_b32 s82, v3, 37                                 // 00000000CD68: D2890052 00014B03
	s_and_b32 s82, s82, 0xffffff                               // 00000000CD70: 8652FF52 00FFFFFF
	s_cmp_lt_u32 s82, s66                                      // 00000000CD78: BF0A4252
	s_cselect_b32 s21, s36, s60                                // 00000000CD7C: 85153C24
	s_mov_b64 exec, s[20:21]                                   // 00000000CD80: BEFE0114
	global_atomic_add_f32 v6, v168, s[8:9]                     // 00000000CD84: DD348000 0008A806
	s_mov_b64 exec, s[36:37]                                   // 00000000CD8C: BEFE0124
	v_mov_b32_e32 v6, v87                                      // 00000000CD90: 7E0C0357
	s_mov_b64 s[60:61], 0                                      // 00000000CD94: BEBC0180
	v_readlane_b32 s82, v3, 38                                 // 00000000CD98: D2890052 00014D03
	s_and_b32 s82, s82, 0xffffff                               // 00000000CDA0: 8652FF52 00FFFFFF
	s_cmp_lt_u32 s82, s66                                      // 00000000CDA8: BF0A4252
	s_cselect_b32 s20, s36, s60                                // 00000000CDAC: 85143C24
	v_readlane_b32 s82, v3, 39                                 // 00000000CDB0: D2890052 00014F03
	s_and_b32 s82, s82, 0xffffff                               // 00000000CDB8: 8652FF52 00FFFFFF
	s_cmp_lt_u32 s82, s66                                      // 00000000CDC0: BF0A4252
	s_cselect_b32 s21, s36, s60                                // 00000000CDC4: 85153C24
	s_mov_b64 exec, s[20:21]                                   // 00000000CDC8: BEFE0114
	global_atomic_add_f32 v6, v169, s[8:9]                     // 00000000CDCC: DD348000 0008A906
	s_mov_b64 exec, s[36:37]                                   // 00000000CDD4: BEFE0124
	ds_write_b64 v20, v[134:135]                               // 00000000CDD8: D89A0000 00008614
	ds_write_b64 v20, v[138:139] offset:2176                   // 00000000CDE0: D89A0880 00008A14
	ds_write_b64 v20, v[142:143] offset:4352                   // 00000000CDE8: D89A1100 00008E14
	ds_write_b64 v20, v[146:147] offset:6528                   // 00000000CDF0: D89A1980 00009214
	ds_write_b64 v20, v[150:151] offset:8704                   // 00000000CDF8: D89A2200 00009614
	ds_write_b64 v20, v[154:155] offset:10880                  // 00000000CE00: D89A2A80 00009A14
	ds_write_b64 v20, v[158:159] offset:13056                  // 00000000CE08: D89A3300 00009E14
	ds_write_b64 v20, v[162:163] offset:15232                  // 00000000CE10: D89A3B80 0000A214
	ds_write_b64 v20, v[166:167] offset:17408                  // 00000000CE18: D89A4400 0000A614
	ds_write_b64 v20, v[170:171] offset:19584                  // 00000000CE20: D89A4C80 0000AA14
	s_waitcnt lgkmcnt(0)                                       // 00000000CE28: BF8CC07F
	s_barrier                                                  // 00000000CE2C: BF8A0000
	ds_read_b32 v134, v21                                      // 00000000CE30: D86C0000 86000015
	ds_read_b32 v135, v21 offset:64                            // 00000000CE38: D86C0040 87000015
	ds_read_b32 v138, v21 offset:2176                          // 00000000CE40: D86C0880 8A000015
	ds_read_b32 v139, v21 offset:2240                          // 00000000CE48: D86C08C0 8B000015
	ds_read_b32 v142, v21 offset:4352                          // 00000000CE50: D86C1100 8E000015
	ds_read_b32 v143, v21 offset:4416                          // 00000000CE58: D86C1140 8F000015
	ds_read_b32 v146, v21 offset:6528                          // 00000000CE60: D86C1980 92000015
	ds_read_b32 v147, v21 offset:6592                          // 00000000CE68: D86C19C0 93000015
	ds_read_b32 v150, v21 offset:8704                          // 00000000CE70: D86C2200 96000015
	ds_read_b32 v151, v21 offset:8768                          // 00000000CE78: D86C2240 97000015
	ds_read_b32 v154, v21 offset:10880                         // 00000000CE80: D86C2A80 9A000015
	ds_read_b32 v155, v21 offset:10944                         // 00000000CE88: D86C2AC0 9B000015
	ds_read_b32 v158, v21 offset:13056                         // 00000000CE90: D86C3300 9E000015
	ds_read_b32 v159, v21 offset:13120                         // 00000000CE98: D86C3340 9F000015
	ds_read_b32 v162, v21 offset:15232                         // 00000000CEA0: D86C3B80 A2000015
	ds_read_b32 v163, v21 offset:15296                         // 00000000CEA8: D86C3BC0 A3000015
	ds_read_b32 v166, v21 offset:17408                         // 00000000CEB0: D86C4400 A6000015
	ds_read_b32 v167, v21 offset:17472                         // 00000000CEB8: D86C4440 A7000015
	ds_read_b32 v170, v21 offset:19584                         // 00000000CEC0: D86C4C80 AA000015
	ds_read_b32 v171, v21 offset:19648                         // 00000000CEC8: D86C4CC0 AB000015
	s_waitcnt lgkmcnt(0)                                       // 00000000CED0: BF8CC07F
	v_mov_b32_e32 v7, 0                                        // 00000000CED4: 7E0E0280
	s_mov_b64 exec, s[36:37]                                   // 00000000CED8: BEFE0124
	v_mov_b32_e32 v6, v68                                      // 00000000CEDC: 7E0C0344
	s_mov_b64 s[60:61], 0                                      // 00000000CEE0: BEBC0180
	v_readlane_b32 s82, v3, 0                                  // 00000000CEE4: D2890052 00010103
	s_and_b32 s82, s82, 0xffffff                               // 00000000CEEC: 8652FF52 00FFFFFF
	s_cmp_lt_u32 s82, s66                                      // 00000000CEF4: BF0A4252
	s_cselect_b32 s20, s36, s60                                // 00000000CEF8: 85143C24
	v_readlane_b32 s82, v3, 1                                  // 00000000CEFC: D2890052 00010303
	s_and_b32 s82, s82, 0xffffff                               // 00000000CF04: 8652FF52 00FFFFFF
	s_cmp_lt_u32 s82, s66                                      // 00000000CF0C: BF0A4252
	s_cselect_b32 s21, s36, s60                                // 00000000CF10: 85153C24
	s_mov_b64 exec, s[20:21]                                   // 00000000CF14: BEFE0114
	global_atomic_add_f32 v6, v134, s[8:9] offset:8            // 00000000CF18: DD348008 00088606
	s_mov_b64 exec, s[36:37]                                   // 00000000CF20: BEFE0124
	v_mov_b32_e32 v6, v69                                      // 00000000CF24: 7E0C0345
	s_mov_b64 s[60:61], 0                                      // 00000000CF28: BEBC0180
	v_readlane_b32 s82, v3, 2                                  // 00000000CF2C: D2890052 00010503
	s_and_b32 s82, s82, 0xffffff                               // 00000000CF34: 8652FF52 00FFFFFF
	s_cmp_lt_u32 s82, s66                                      // 00000000CF3C: BF0A4252
	s_cselect_b32 s20, s36, s60                                // 00000000CF40: 85143C24
	v_readlane_b32 s82, v3, 3                                  // 00000000CF44: D2890052 00010703
	s_and_b32 s82, s82, 0xffffff                               // 00000000CF4C: 8652FF52 00FFFFFF
	s_cmp_lt_u32 s82, s66                                      // 00000000CF54: BF0A4252
	s_cselect_b32 s21, s36, s60                                // 00000000CF58: 85153C24
	s_mov_b64 exec, s[20:21]                                   // 00000000CF5C: BEFE0114
	global_atomic_add_f32 v6, v135, s[8:9] offset:8            // 00000000CF60: DD348008 00088706
	s_mov_b64 exec, s[36:37]                                   // 00000000CF68: BEFE0124
	v_mov_b32_e32 v6, v70                                      // 00000000CF6C: 7E0C0346
	s_mov_b64 s[60:61], 0                                      // 00000000CF70: BEBC0180
	v_readlane_b32 s82, v3, 4                                  // 00000000CF74: D2890052 00010903
	s_and_b32 s82, s82, 0xffffff                               // 00000000CF7C: 8652FF52 00FFFFFF
	s_cmp_lt_u32 s82, s66                                      // 00000000CF84: BF0A4252
	s_cselect_b32 s20, s36, s60                                // 00000000CF88: 85143C24
	v_readlane_b32 s82, v3, 5                                  // 00000000CF8C: D2890052 00010B03
	s_and_b32 s82, s82, 0xffffff                               // 00000000CF94: 8652FF52 00FFFFFF
	s_cmp_lt_u32 s82, s66                                      // 00000000CF9C: BF0A4252
	s_cselect_b32 s21, s36, s60                                // 00000000CFA0: 85153C24
	s_mov_b64 exec, s[20:21]                                   // 00000000CFA4: BEFE0114
	global_atomic_add_f32 v6, v138, s[8:9] offset:8            // 00000000CFA8: DD348008 00088A06
	s_mov_b64 exec, s[36:37]                                   // 00000000CFB0: BEFE0124
	v_mov_b32_e32 v6, v71                                      // 00000000CFB4: 7E0C0347
	s_mov_b64 s[60:61], 0                                      // 00000000CFB8: BEBC0180
	v_readlane_b32 s82, v3, 6                                  // 00000000CFBC: D2890052 00010D03
	s_and_b32 s82, s82, 0xffffff                               // 00000000CFC4: 8652FF52 00FFFFFF
	s_cmp_lt_u32 s82, s66                                      // 00000000CFCC: BF0A4252
	s_cselect_b32 s20, s36, s60                                // 00000000CFD0: 85143C24
	v_readlane_b32 s82, v3, 7                                  // 00000000CFD4: D2890052 00010F03
	s_and_b32 s82, s82, 0xffffff                               // 00000000CFDC: 8652FF52 00FFFFFF
	s_cmp_lt_u32 s82, s66                                      // 00000000CFE4: BF0A4252
	s_cselect_b32 s21, s36, s60                                // 00000000CFE8: 85153C24
	s_mov_b64 exec, s[20:21]                                   // 00000000CFEC: BEFE0114
	global_atomic_add_f32 v6, v139, s[8:9] offset:8            // 00000000CFF0: DD348008 00088B06
	s_mov_b64 exec, s[36:37]                                   // 00000000CFF8: BEFE0124
	v_mov_b32_e32 v6, v72                                      // 00000000CFFC: 7E0C0348
	s_mov_b64 s[60:61], 0                                      // 00000000D000: BEBC0180
	v_readlane_b32 s82, v3, 8                                  // 00000000D004: D2890052 00011103
	s_and_b32 s82, s82, 0xffffff                               // 00000000D00C: 8652FF52 00FFFFFF
	s_cmp_lt_u32 s82, s66                                      // 00000000D014: BF0A4252
	s_cselect_b32 s20, s36, s60                                // 00000000D018: 85143C24
	v_readlane_b32 s82, v3, 9                                  // 00000000D01C: D2890052 00011303
	s_and_b32 s82, s82, 0xffffff                               // 00000000D024: 8652FF52 00FFFFFF
	s_cmp_lt_u32 s82, s66                                      // 00000000D02C: BF0A4252
	s_cselect_b32 s21, s36, s60                                // 00000000D030: 85153C24
	s_mov_b64 exec, s[20:21]                                   // 00000000D034: BEFE0114
	global_atomic_add_f32 v6, v142, s[8:9] offset:8            // 00000000D038: DD348008 00088E06
	s_mov_b64 exec, s[36:37]                                   // 00000000D040: BEFE0124
	v_mov_b32_e32 v6, v73                                      // 00000000D044: 7E0C0349
	s_mov_b64 s[60:61], 0                                      // 00000000D048: BEBC0180
	v_readlane_b32 s82, v3, 10                                 // 00000000D04C: D2890052 00011503
	s_and_b32 s82, s82, 0xffffff                               // 00000000D054: 8652FF52 00FFFFFF
	s_cmp_lt_u32 s82, s66                                      // 00000000D05C: BF0A4252
	s_cselect_b32 s20, s36, s60                                // 00000000D060: 85143C24
	v_readlane_b32 s82, v3, 11                                 // 00000000D064: D2890052 00011703
	s_and_b32 s82, s82, 0xffffff                               // 00000000D06C: 8652FF52 00FFFFFF
	s_cmp_lt_u32 s82, s66                                      // 00000000D074: BF0A4252
	s_cselect_b32 s21, s36, s60                                // 00000000D078: 85153C24
	s_mov_b64 exec, s[20:21]                                   // 00000000D07C: BEFE0114
	global_atomic_add_f32 v6, v143, s[8:9] offset:8            // 00000000D080: DD348008 00088F06
	s_mov_b64 exec, s[36:37]                                   // 00000000D088: BEFE0124
	v_mov_b32_e32 v6, v74                                      // 00000000D08C: 7E0C034A
	s_mov_b64 s[60:61], 0                                      // 00000000D090: BEBC0180
	v_readlane_b32 s82, v3, 12                                 // 00000000D094: D2890052 00011903
	s_and_b32 s82, s82, 0xffffff                               // 00000000D09C: 8652FF52 00FFFFFF
	s_cmp_lt_u32 s82, s66                                      // 00000000D0A4: BF0A4252
	s_cselect_b32 s20, s36, s60                                // 00000000D0A8: 85143C24
	v_readlane_b32 s82, v3, 13                                 // 00000000D0AC: D2890052 00011B03
	s_and_b32 s82, s82, 0xffffff                               // 00000000D0B4: 8652FF52 00FFFFFF
	s_cmp_lt_u32 s82, s66                                      // 00000000D0BC: BF0A4252
	s_cselect_b32 s21, s36, s60                                // 00000000D0C0: 85153C24
	s_mov_b64 exec, s[20:21]                                   // 00000000D0C4: BEFE0114
	global_atomic_add_f32 v6, v146, s[8:9] offset:8            // 00000000D0C8: DD348008 00089206
	s_mov_b64 exec, s[36:37]                                   // 00000000D0D0: BEFE0124
	v_mov_b32_e32 v6, v75                                      // 00000000D0D4: 7E0C034B
	s_mov_b64 s[60:61], 0                                      // 00000000D0D8: BEBC0180
	v_readlane_b32 s82, v3, 14                                 // 00000000D0DC: D2890052 00011D03
	s_and_b32 s82, s82, 0xffffff                               // 00000000D0E4: 8652FF52 00FFFFFF
	s_cmp_lt_u32 s82, s66                                      // 00000000D0EC: BF0A4252
	s_cselect_b32 s20, s36, s60                                // 00000000D0F0: 85143C24
	v_readlane_b32 s82, v3, 15                                 // 00000000D0F4: D2890052 00011F03
	s_and_b32 s82, s82, 0xffffff                               // 00000000D0FC: 8652FF52 00FFFFFF
	s_cmp_lt_u32 s82, s66                                      // 00000000D104: BF0A4252
	s_cselect_b32 s21, s36, s60                                // 00000000D108: 85153C24
	s_mov_b64 exec, s[20:21]                                   // 00000000D10C: BEFE0114
	global_atomic_add_f32 v6, v147, s[8:9] offset:8            // 00000000D110: DD348008 00089306
	s_mov_b64 exec, s[36:37]                                   // 00000000D118: BEFE0124
	v_mov_b32_e32 v6, v76                                      // 00000000D11C: 7E0C034C
	s_mov_b64 s[60:61], 0                                      // 00000000D120: BEBC0180
	v_readlane_b32 s82, v3, 16                                 // 00000000D124: D2890052 00012103
	s_and_b32 s82, s82, 0xffffff                               // 00000000D12C: 8652FF52 00FFFFFF
	s_cmp_lt_u32 s82, s66                                      // 00000000D134: BF0A4252
	s_cselect_b32 s20, s36, s60                                // 00000000D138: 85143C24
	v_readlane_b32 s82, v3, 17                                 // 00000000D13C: D2890052 00012303
	s_and_b32 s82, s82, 0xffffff                               // 00000000D144: 8652FF52 00FFFFFF
	s_cmp_lt_u32 s82, s66                                      // 00000000D14C: BF0A4252
	s_cselect_b32 s21, s36, s60                                // 00000000D150: 85153C24
	s_mov_b64 exec, s[20:21]                                   // 00000000D154: BEFE0114
	global_atomic_add_f32 v6, v150, s[8:9] offset:8            // 00000000D158: DD348008 00089606
	s_mov_b64 exec, s[36:37]                                   // 00000000D160: BEFE0124
	v_mov_b32_e32 v6, v77                                      // 00000000D164: 7E0C034D
	s_mov_b64 s[60:61], 0                                      // 00000000D168: BEBC0180
	v_readlane_b32 s82, v3, 18                                 // 00000000D16C: D2890052 00012503
	s_and_b32 s82, s82, 0xffffff                               // 00000000D174: 8652FF52 00FFFFFF
	s_cmp_lt_u32 s82, s66                                      // 00000000D17C: BF0A4252
	s_cselect_b32 s20, s36, s60                                // 00000000D180: 85143C24
	v_readlane_b32 s82, v3, 19                                 // 00000000D184: D2890052 00012703
	s_and_b32 s82, s82, 0xffffff                               // 00000000D18C: 8652FF52 00FFFFFF
	s_cmp_lt_u32 s82, s66                                      // 00000000D194: BF0A4252
	s_cselect_b32 s21, s36, s60                                // 00000000D198: 85153C24
	s_mov_b64 exec, s[20:21]                                   // 00000000D19C: BEFE0114
	global_atomic_add_f32 v6, v151, s[8:9] offset:8            // 00000000D1A0: DD348008 00089706
	s_mov_b64 exec, s[36:37]                                   // 00000000D1A8: BEFE0124
	v_mov_b32_e32 v6, v78                                      // 00000000D1AC: 7E0C034E
	s_mov_b64 s[60:61], 0                                      // 00000000D1B0: BEBC0180
	v_readlane_b32 s82, v3, 20                                 // 00000000D1B4: D2890052 00012903
	s_and_b32 s82, s82, 0xffffff                               // 00000000D1BC: 8652FF52 00FFFFFF
	s_cmp_lt_u32 s82, s66                                      // 00000000D1C4: BF0A4252
	s_cselect_b32 s20, s36, s60                                // 00000000D1C8: 85143C24
	v_readlane_b32 s82, v3, 21                                 // 00000000D1CC: D2890052 00012B03
	s_and_b32 s82, s82, 0xffffff                               // 00000000D1D4: 8652FF52 00FFFFFF
	s_cmp_lt_u32 s82, s66                                      // 00000000D1DC: BF0A4252
	s_cselect_b32 s21, s36, s60                                // 00000000D1E0: 85153C24
	s_mov_b64 exec, s[20:21]                                   // 00000000D1E4: BEFE0114
	global_atomic_add_f32 v6, v154, s[8:9] offset:8            // 00000000D1E8: DD348008 00089A06
	s_mov_b64 exec, s[36:37]                                   // 00000000D1F0: BEFE0124
	v_mov_b32_e32 v6, v79                                      // 00000000D1F4: 7E0C034F
	s_mov_b64 s[60:61], 0                                      // 00000000D1F8: BEBC0180
	v_readlane_b32 s82, v3, 22                                 // 00000000D1FC: D2890052 00012D03
	s_and_b32 s82, s82, 0xffffff                               // 00000000D204: 8652FF52 00FFFFFF
	s_cmp_lt_u32 s82, s66                                      // 00000000D20C: BF0A4252
	s_cselect_b32 s20, s36, s60                                // 00000000D210: 85143C24
	v_readlane_b32 s82, v3, 23                                 // 00000000D214: D2890052 00012F03
	s_and_b32 s82, s82, 0xffffff                               // 00000000D21C: 8652FF52 00FFFFFF
	s_cmp_lt_u32 s82, s66                                      // 00000000D224: BF0A4252
	s_cselect_b32 s21, s36, s60                                // 00000000D228: 85153C24
	s_mov_b64 exec, s[20:21]                                   // 00000000D22C: BEFE0114
	global_atomic_add_f32 v6, v155, s[8:9] offset:8            // 00000000D230: DD348008 00089B06
	s_mov_b64 exec, s[36:37]                                   // 00000000D238: BEFE0124
	v_mov_b32_e32 v6, v80                                      // 00000000D23C: 7E0C0350
	s_mov_b64 s[60:61], 0                                      // 00000000D240: BEBC0180
	v_readlane_b32 s82, v3, 24                                 // 00000000D244: D2890052 00013103
	s_and_b32 s82, s82, 0xffffff                               // 00000000D24C: 8652FF52 00FFFFFF
	s_cmp_lt_u32 s82, s66                                      // 00000000D254: BF0A4252
	s_cselect_b32 s20, s36, s60                                // 00000000D258: 85143C24
	v_readlane_b32 s82, v3, 25                                 // 00000000D25C: D2890052 00013303
	s_and_b32 s82, s82, 0xffffff                               // 00000000D264: 8652FF52 00FFFFFF
	s_cmp_lt_u32 s82, s66                                      // 00000000D26C: BF0A4252
	s_cselect_b32 s21, s36, s60                                // 00000000D270: 85153C24
	s_mov_b64 exec, s[20:21]                                   // 00000000D274: BEFE0114
	global_atomic_add_f32 v6, v158, s[8:9] offset:8            // 00000000D278: DD348008 00089E06
	s_mov_b64 exec, s[36:37]                                   // 00000000D280: BEFE0124
	v_mov_b32_e32 v6, v81                                      // 00000000D284: 7E0C0351
	s_mov_b64 s[60:61], 0                                      // 00000000D288: BEBC0180
	v_readlane_b32 s82, v3, 26                                 // 00000000D28C: D2890052 00013503
	s_and_b32 s82, s82, 0xffffff                               // 00000000D294: 8652FF52 00FFFFFF
	s_cmp_lt_u32 s82, s66                                      // 00000000D29C: BF0A4252
	s_cselect_b32 s20, s36, s60                                // 00000000D2A0: 85143C24
	v_readlane_b32 s82, v3, 27                                 // 00000000D2A4: D2890052 00013703
	s_and_b32 s82, s82, 0xffffff                               // 00000000D2AC: 8652FF52 00FFFFFF
	s_cmp_lt_u32 s82, s66                                      // 00000000D2B4: BF0A4252
	s_cselect_b32 s21, s36, s60                                // 00000000D2B8: 85153C24
	s_mov_b64 exec, s[20:21]                                   // 00000000D2BC: BEFE0114
	global_atomic_add_f32 v6, v159, s[8:9] offset:8            // 00000000D2C0: DD348008 00089F06
	s_mov_b64 exec, s[36:37]                                   // 00000000D2C8: BEFE0124
	v_mov_b32_e32 v6, v82                                      // 00000000D2CC: 7E0C0352
	s_mov_b64 s[60:61], 0                                      // 00000000D2D0: BEBC0180
	v_readlane_b32 s82, v3, 28                                 // 00000000D2D4: D2890052 00013903
	s_and_b32 s82, s82, 0xffffff                               // 00000000D2DC: 8652FF52 00FFFFFF
	s_cmp_lt_u32 s82, s66                                      // 00000000D2E4: BF0A4252
	s_cselect_b32 s20, s36, s60                                // 00000000D2E8: 85143C24
	v_readlane_b32 s82, v3, 29                                 // 00000000D2EC: D2890052 00013B03
	s_and_b32 s82, s82, 0xffffff                               // 00000000D2F4: 8652FF52 00FFFFFF
	s_cmp_lt_u32 s82, s66                                      // 00000000D2FC: BF0A4252
	s_cselect_b32 s21, s36, s60                                // 00000000D300: 85153C24
	s_mov_b64 exec, s[20:21]                                   // 00000000D304: BEFE0114
	global_atomic_add_f32 v6, v162, s[8:9] offset:8            // 00000000D308: DD348008 0008A206
	s_mov_b64 exec, s[36:37]                                   // 00000000D310: BEFE0124
	v_mov_b32_e32 v6, v83                                      // 00000000D314: 7E0C0353
	s_mov_b64 s[60:61], 0                                      // 00000000D318: BEBC0180
	v_readlane_b32 s82, v3, 30                                 // 00000000D31C: D2890052 00013D03
	s_and_b32 s82, s82, 0xffffff                               // 00000000D324: 8652FF52 00FFFFFF
	s_cmp_lt_u32 s82, s66                                      // 00000000D32C: BF0A4252
	s_cselect_b32 s20, s36, s60                                // 00000000D330: 85143C24
	v_readlane_b32 s82, v3, 31                                 // 00000000D334: D2890052 00013F03
	s_and_b32 s82, s82, 0xffffff                               // 00000000D33C: 8652FF52 00FFFFFF
	s_cmp_lt_u32 s82, s66                                      // 00000000D344: BF0A4252
	s_cselect_b32 s21, s36, s60                                // 00000000D348: 85153C24
	s_mov_b64 exec, s[20:21]                                   // 00000000D34C: BEFE0114
	global_atomic_add_f32 v6, v163, s[8:9] offset:8            // 00000000D350: DD348008 0008A306
	s_mov_b64 exec, s[36:37]                                   // 00000000D358: BEFE0124
	v_mov_b32_e32 v6, v84                                      // 00000000D35C: 7E0C0354
	s_mov_b64 s[60:61], 0                                      // 00000000D360: BEBC0180
	v_readlane_b32 s82, v3, 32                                 // 00000000D364: D2890052 00014103
	s_and_b32 s82, s82, 0xffffff                               // 00000000D36C: 8652FF52 00FFFFFF
	s_cmp_lt_u32 s82, s66                                      // 00000000D374: BF0A4252
	s_cselect_b32 s20, s36, s60                                // 00000000D378: 85143C24
	v_readlane_b32 s82, v3, 33                                 // 00000000D37C: D2890052 00014303
	s_and_b32 s82, s82, 0xffffff                               // 00000000D384: 8652FF52 00FFFFFF
	s_cmp_lt_u32 s82, s66                                      // 00000000D38C: BF0A4252
	s_cselect_b32 s21, s36, s60                                // 00000000D390: 85153C24
	s_mov_b64 exec, s[20:21]                                   // 00000000D394: BEFE0114
	global_atomic_add_f32 v6, v166, s[8:9] offset:8            // 00000000D398: DD348008 0008A606
	s_mov_b64 exec, s[36:37]                                   // 00000000D3A0: BEFE0124
	v_mov_b32_e32 v6, v85                                      // 00000000D3A4: 7E0C0355
	s_mov_b64 s[60:61], 0                                      // 00000000D3A8: BEBC0180
	v_readlane_b32 s82, v3, 34                                 // 00000000D3AC: D2890052 00014503
	s_and_b32 s82, s82, 0xffffff                               // 00000000D3B4: 8652FF52 00FFFFFF
	s_cmp_lt_u32 s82, s66                                      // 00000000D3BC: BF0A4252
	s_cselect_b32 s20, s36, s60                                // 00000000D3C0: 85143C24
	v_readlane_b32 s82, v3, 35                                 // 00000000D3C4: D2890052 00014703
	s_and_b32 s82, s82, 0xffffff                               // 00000000D3CC: 8652FF52 00FFFFFF
	s_cmp_lt_u32 s82, s66                                      // 00000000D3D4: BF0A4252
	s_cselect_b32 s21, s36, s60                                // 00000000D3D8: 85153C24
	s_mov_b64 exec, s[20:21]                                   // 00000000D3DC: BEFE0114
	global_atomic_add_f32 v6, v167, s[8:9] offset:8            // 00000000D3E0: DD348008 0008A706
	s_mov_b64 exec, s[36:37]                                   // 00000000D3E8: BEFE0124
	v_mov_b32_e32 v6, v86                                      // 00000000D3EC: 7E0C0356
	s_mov_b64 s[60:61], 0                                      // 00000000D3F0: BEBC0180
	v_readlane_b32 s82, v3, 36                                 // 00000000D3F4: D2890052 00014903
	s_and_b32 s82, s82, 0xffffff                               // 00000000D3FC: 8652FF52 00FFFFFF
	s_cmp_lt_u32 s82, s66                                      // 00000000D404: BF0A4252
	s_cselect_b32 s20, s36, s60                                // 00000000D408: 85143C24
	v_readlane_b32 s82, v3, 37                                 // 00000000D40C: D2890052 00014B03
	s_and_b32 s82, s82, 0xffffff                               // 00000000D414: 8652FF52 00FFFFFF
	s_cmp_lt_u32 s82, s66                                      // 00000000D41C: BF0A4252
	s_cselect_b32 s21, s36, s60                                // 00000000D420: 85153C24
	s_mov_b64 exec, s[20:21]                                   // 00000000D424: BEFE0114
	global_atomic_add_f32 v6, v170, s[8:9] offset:8            // 00000000D428: DD348008 0008AA06
	s_mov_b64 exec, s[36:37]                                   // 00000000D430: BEFE0124
	v_mov_b32_e32 v6, v87                                      // 00000000D434: 7E0C0357
	s_mov_b64 s[60:61], 0                                      // 00000000D438: BEBC0180
	v_readlane_b32 s82, v3, 38                                 // 00000000D43C: D2890052 00014D03
	s_and_b32 s82, s82, 0xffffff                               // 00000000D444: 8652FF52 00FFFFFF
	s_cmp_lt_u32 s82, s66                                      // 00000000D44C: BF0A4252
	s_cselect_b32 s20, s36, s60                                // 00000000D450: 85143C24
	v_readlane_b32 s82, v3, 39                                 // 00000000D454: D2890052 00014F03
	s_and_b32 s82, s82, 0xffffff                               // 00000000D45C: 8652FF52 00FFFFFF
	s_cmp_lt_u32 s82, s66                                      // 00000000D464: BF0A4252
	s_cselect_b32 s21, s36, s60                                // 00000000D468: 85153C24
	s_mov_b64 exec, s[20:21]                                   // 00000000D46C: BEFE0114
	global_atomic_add_f32 v6, v171, s[8:9] offset:8            // 00000000D470: DD348008 0008AB06
	s_mov_b64 exec, s[36:37]                                   // 00000000D478: BEFE0124
	s_branch label_2AA3                                        // 00000000D47C: BF820000

000000000000d480 <label_2AA3>:
	s_waitcnt vmcnt(0) expcnt(0) lgkmcnt(0)                    // 00000000D480: BF8C0000
	s_endpgm                                                   // 00000000D484: BF810000
